;; amdgpu-corpus repo=ROCm/rocFFT kind=compiled arch=gfx906 opt=O3
	.text
	.amdgcn_target "amdgcn-amd-amdhsa--gfx906"
	.amdhsa_code_object_version 6
	.protected	fft_rtc_fwd_len3200_factors_10_10_4_4_2_wgs_160_tpt_160_halfLds_sp_ip_CI_sbrr_dirReg ; -- Begin function fft_rtc_fwd_len3200_factors_10_10_4_4_2_wgs_160_tpt_160_halfLds_sp_ip_CI_sbrr_dirReg
	.globl	fft_rtc_fwd_len3200_factors_10_10_4_4_2_wgs_160_tpt_160_halfLds_sp_ip_CI_sbrr_dirReg
	.p2align	8
	.type	fft_rtc_fwd_len3200_factors_10_10_4_4_2_wgs_160_tpt_160_halfLds_sp_ip_CI_sbrr_dirReg,@function
fft_rtc_fwd_len3200_factors_10_10_4_4_2_wgs_160_tpt_160_halfLds_sp_ip_CI_sbrr_dirReg: ; @fft_rtc_fwd_len3200_factors_10_10_4_4_2_wgs_160_tpt_160_halfLds_sp_ip_CI_sbrr_dirReg
; %bb.0:
	s_load_dwordx2 s[14:15], s[4:5], 0x18
	s_load_dwordx4 s[8:11], s[4:5], 0x0
	s_load_dwordx2 s[12:13], s[4:5], 0x50
	v_mul_u32_u24_e32 v1, 0x19a, v0
	v_add_u32_sdwa v5, s6, v1 dst_sel:DWORD dst_unused:UNUSED_PAD src0_sel:DWORD src1_sel:WORD_1
	s_waitcnt lgkmcnt(0)
	s_load_dwordx2 s[2:3], s[14:15], 0x0
	v_cmp_lt_u64_e64 s[0:1], s[10:11], 2
	v_mov_b32_e32 v3, 0
	v_mov_b32_e32 v1, 0
	;; [unrolled: 1-line block ×3, first 2 shown]
	s_and_b64 vcc, exec, s[0:1]
	v_mov_b32_e32 v2, 0
	s_cbranch_vccnz .LBB0_8
; %bb.1:
	s_load_dwordx2 s[0:1], s[4:5], 0x10
	s_add_u32 s6, s14, 8
	s_addc_u32 s7, s15, 0
	v_mov_b32_e32 v1, 0
	v_mov_b32_e32 v2, 0
	s_waitcnt lgkmcnt(0)
	s_add_u32 s16, s0, 8
	s_addc_u32 s17, s1, 0
	s_mov_b64 s[18:19], 1
.LBB0_2:                                ; =>This Inner Loop Header: Depth=1
	s_load_dwordx2 s[20:21], s[16:17], 0x0
                                        ; implicit-def: $vgpr7_vgpr8
	s_waitcnt lgkmcnt(0)
	v_or_b32_e32 v4, s21, v6
	v_cmp_ne_u64_e32 vcc, 0, v[3:4]
	s_and_saveexec_b64 s[0:1], vcc
	s_xor_b64 s[22:23], exec, s[0:1]
	s_cbranch_execz .LBB0_4
; %bb.3:                                ;   in Loop: Header=BB0_2 Depth=1
	v_cvt_f32_u32_e32 v4, s20
	v_cvt_f32_u32_e32 v7, s21
	s_sub_u32 s0, 0, s20
	s_subb_u32 s1, 0, s21
	v_mac_f32_e32 v4, 0x4f800000, v7
	v_rcp_f32_e32 v4, v4
	v_mul_f32_e32 v4, 0x5f7ffffc, v4
	v_mul_f32_e32 v7, 0x2f800000, v4
	v_trunc_f32_e32 v7, v7
	v_mac_f32_e32 v4, 0xcf800000, v7
	v_cvt_u32_f32_e32 v7, v7
	v_cvt_u32_f32_e32 v4, v4
	v_mul_lo_u32 v8, s0, v7
	v_mul_hi_u32 v9, s0, v4
	v_mul_lo_u32 v11, s1, v4
	v_mul_lo_u32 v10, s0, v4
	v_add_u32_e32 v8, v9, v8
	v_add_u32_e32 v8, v8, v11
	v_mul_hi_u32 v9, v4, v10
	v_mul_lo_u32 v11, v4, v8
	v_mul_hi_u32 v13, v4, v8
	v_mul_hi_u32 v12, v7, v10
	v_mul_lo_u32 v10, v7, v10
	v_mul_hi_u32 v14, v7, v8
	v_add_co_u32_e32 v9, vcc, v9, v11
	v_addc_co_u32_e32 v11, vcc, 0, v13, vcc
	v_mul_lo_u32 v8, v7, v8
	v_add_co_u32_e32 v9, vcc, v9, v10
	v_addc_co_u32_e32 v9, vcc, v11, v12, vcc
	v_addc_co_u32_e32 v10, vcc, 0, v14, vcc
	v_add_co_u32_e32 v8, vcc, v9, v8
	v_addc_co_u32_e32 v9, vcc, 0, v10, vcc
	v_add_co_u32_e32 v4, vcc, v4, v8
	v_addc_co_u32_e32 v7, vcc, v7, v9, vcc
	v_mul_lo_u32 v8, s0, v7
	v_mul_hi_u32 v9, s0, v4
	v_mul_lo_u32 v10, s1, v4
	v_mul_lo_u32 v11, s0, v4
	v_add_u32_e32 v8, v9, v8
	v_add_u32_e32 v8, v8, v10
	v_mul_lo_u32 v12, v4, v8
	v_mul_hi_u32 v13, v4, v11
	v_mul_hi_u32 v14, v4, v8
	;; [unrolled: 1-line block ×3, first 2 shown]
	v_mul_lo_u32 v11, v7, v11
	v_mul_hi_u32 v9, v7, v8
	v_add_co_u32_e32 v12, vcc, v13, v12
	v_addc_co_u32_e32 v13, vcc, 0, v14, vcc
	v_mul_lo_u32 v8, v7, v8
	v_add_co_u32_e32 v11, vcc, v12, v11
	v_addc_co_u32_e32 v10, vcc, v13, v10, vcc
	v_addc_co_u32_e32 v9, vcc, 0, v9, vcc
	v_add_co_u32_e32 v8, vcc, v10, v8
	v_addc_co_u32_e32 v9, vcc, 0, v9, vcc
	v_add_co_u32_e32 v4, vcc, v4, v8
	v_addc_co_u32_e32 v9, vcc, v7, v9, vcc
	v_mad_u64_u32 v[7:8], s[0:1], v5, v9, 0
	v_mul_hi_u32 v10, v5, v4
	v_add_co_u32_e32 v11, vcc, v10, v7
	v_addc_co_u32_e32 v12, vcc, 0, v8, vcc
	v_mad_u64_u32 v[7:8], s[0:1], v6, v4, 0
	v_mad_u64_u32 v[9:10], s[0:1], v6, v9, 0
	v_add_co_u32_e32 v4, vcc, v11, v7
	v_addc_co_u32_e32 v4, vcc, v12, v8, vcc
	v_addc_co_u32_e32 v7, vcc, 0, v10, vcc
	v_add_co_u32_e32 v4, vcc, v4, v9
	v_addc_co_u32_e32 v9, vcc, 0, v7, vcc
	v_mul_lo_u32 v10, s21, v4
	v_mul_lo_u32 v11, s20, v9
	v_mad_u64_u32 v[7:8], s[0:1], s20, v4, 0
	v_add3_u32 v8, v8, v11, v10
	v_sub_u32_e32 v10, v6, v8
	v_mov_b32_e32 v11, s21
	v_sub_co_u32_e32 v7, vcc, v5, v7
	v_subb_co_u32_e64 v10, s[0:1], v10, v11, vcc
	v_subrev_co_u32_e64 v11, s[0:1], s20, v7
	v_subbrev_co_u32_e64 v10, s[0:1], 0, v10, s[0:1]
	v_cmp_le_u32_e64 s[0:1], s21, v10
	v_cndmask_b32_e64 v12, 0, -1, s[0:1]
	v_cmp_le_u32_e64 s[0:1], s20, v11
	v_cndmask_b32_e64 v11, 0, -1, s[0:1]
	v_cmp_eq_u32_e64 s[0:1], s21, v10
	v_cndmask_b32_e64 v10, v12, v11, s[0:1]
	v_add_co_u32_e64 v11, s[0:1], 2, v4
	v_addc_co_u32_e64 v12, s[0:1], 0, v9, s[0:1]
	v_add_co_u32_e64 v13, s[0:1], 1, v4
	v_addc_co_u32_e64 v14, s[0:1], 0, v9, s[0:1]
	v_subb_co_u32_e32 v8, vcc, v6, v8, vcc
	v_cmp_ne_u32_e64 s[0:1], 0, v10
	v_cmp_le_u32_e32 vcc, s21, v8
	v_cndmask_b32_e64 v10, v14, v12, s[0:1]
	v_cndmask_b32_e64 v12, 0, -1, vcc
	v_cmp_le_u32_e32 vcc, s20, v7
	v_cndmask_b32_e64 v7, 0, -1, vcc
	v_cmp_eq_u32_e32 vcc, s21, v8
	v_cndmask_b32_e32 v7, v12, v7, vcc
	v_cmp_ne_u32_e32 vcc, 0, v7
	v_cndmask_b32_e64 v7, v13, v11, s[0:1]
	v_cndmask_b32_e32 v8, v9, v10, vcc
	v_cndmask_b32_e32 v7, v4, v7, vcc
.LBB0_4:                                ;   in Loop: Header=BB0_2 Depth=1
	s_andn2_saveexec_b64 s[0:1], s[22:23]
	s_cbranch_execz .LBB0_6
; %bb.5:                                ;   in Loop: Header=BB0_2 Depth=1
	v_cvt_f32_u32_e32 v4, s20
	s_sub_i32 s22, 0, s20
	v_rcp_iflag_f32_e32 v4, v4
	v_mul_f32_e32 v4, 0x4f7ffffe, v4
	v_cvt_u32_f32_e32 v4, v4
	v_mul_lo_u32 v7, s22, v4
	v_mul_hi_u32 v7, v4, v7
	v_add_u32_e32 v4, v4, v7
	v_mul_hi_u32 v4, v5, v4
	v_mul_lo_u32 v7, v4, s20
	v_add_u32_e32 v8, 1, v4
	v_sub_u32_e32 v7, v5, v7
	v_subrev_u32_e32 v9, s20, v7
	v_cmp_le_u32_e32 vcc, s20, v7
	v_cndmask_b32_e32 v7, v7, v9, vcc
	v_cndmask_b32_e32 v4, v4, v8, vcc
	v_add_u32_e32 v8, 1, v4
	v_cmp_le_u32_e32 vcc, s20, v7
	v_cndmask_b32_e32 v7, v4, v8, vcc
	v_mov_b32_e32 v8, v3
.LBB0_6:                                ;   in Loop: Header=BB0_2 Depth=1
	s_or_b64 exec, exec, s[0:1]
	v_mul_lo_u32 v4, v8, s20
	v_mul_lo_u32 v11, v7, s21
	v_mad_u64_u32 v[9:10], s[0:1], v7, s20, 0
	s_load_dwordx2 s[0:1], s[6:7], 0x0
	s_add_u32 s18, s18, 1
	v_add3_u32 v4, v10, v11, v4
	v_sub_co_u32_e32 v5, vcc, v5, v9
	v_subb_co_u32_e32 v4, vcc, v6, v4, vcc
	s_waitcnt lgkmcnt(0)
	v_mul_lo_u32 v4, s0, v4
	v_mul_lo_u32 v6, s1, v5
	v_mad_u64_u32 v[1:2], s[0:1], s0, v5, v[1:2]
	s_addc_u32 s19, s19, 0
	s_add_u32 s6, s6, 8
	v_add3_u32 v2, v6, v2, v4
	v_mov_b32_e32 v4, s10
	v_mov_b32_e32 v5, s11
	s_addc_u32 s7, s7, 0
	v_cmp_ge_u64_e32 vcc, s[18:19], v[4:5]
	s_add_u32 s16, s16, 8
	s_addc_u32 s17, s17, 0
	s_cbranch_vccnz .LBB0_9
; %bb.7:                                ;   in Loop: Header=BB0_2 Depth=1
	v_mov_b32_e32 v5, v7
	v_mov_b32_e32 v6, v8
	s_branch .LBB0_2
.LBB0_8:
	v_mov_b32_e32 v8, v6
	v_mov_b32_e32 v7, v5
.LBB0_9:
	s_lshl_b64 s[0:1], s[10:11], 3
	s_add_u32 s0, s14, s0
	s_addc_u32 s1, s15, s1
	s_load_dwordx2 s[6:7], s[0:1], 0x0
	s_load_dwordx2 s[10:11], s[4:5], 0x20
                                        ; implicit-def: $vgpr16
                                        ; implicit-def: $vgpr12
                                        ; implicit-def: $vgpr13
                                        ; implicit-def: $vgpr14
                                        ; implicit-def: $vgpr17
                                        ; implicit-def: $vgpr20
                                        ; implicit-def: $vgpr19
                                        ; implicit-def: $vgpr21
                                        ; implicit-def: $vgpr22
	s_waitcnt lgkmcnt(0)
	v_mad_u64_u32 v[1:2], s[0:1], s6, v7, v[1:2]
	s_mov_b32 s0, 0x199999a
	v_mul_lo_u32 v3, s6, v8
	v_mul_lo_u32 v4, s7, v7
	v_mul_hi_u32 v5, v0, s0
	v_cmp_gt_u64_e32 vcc, s[10:11], v[7:8]
	v_cmp_le_u64_e64 s[0:1], s[10:11], v[7:8]
	v_add3_u32 v2, v4, v2, v3
	v_mul_u32_u24_e32 v3, 0xa0, v5
	v_sub_u32_e32 v8, v0, v3
	s_and_saveexec_b64 s[4:5], s[0:1]
	s_xor_b64 s[0:1], exec, s[4:5]
; %bb.10:
	v_add_u32_e32 v16, 0xa0, v8
	v_add_u32_e32 v12, 0x140, v8
	v_add_u32_e32 v13, 0x280, v8
	v_add_u32_e32 v14, 0x3c0, v8
	v_or_b32_e32 v17, 0x500, v8
	v_add_u32_e32 v20, 0x320, v8
	v_add_u32_e32 v19, 0x1e0, v8
	;; [unrolled: 1-line block ×4, first 2 shown]
; %bb.11:
	s_or_saveexec_b64 s[4:5], s[0:1]
	v_lshlrev_b64 v[10:11], 3, v[1:2]
                                        ; implicit-def: $vgpr3
                                        ; implicit-def: $vgpr37
                                        ; implicit-def: $vgpr39
                                        ; implicit-def: $vgpr45
                                        ; implicit-def: $vgpr41
                                        ; implicit-def: $vgpr43
                                        ; implicit-def: $vgpr49
                                        ; implicit-def: $vgpr47
                                        ; implicit-def: $vgpr1
                                        ; implicit-def: $vgpr7
                                        ; implicit-def: $vgpr53
                                        ; implicit-def: $vgpr24
                                        ; implicit-def: $vgpr29
                                        ; implicit-def: $vgpr27
                                        ; implicit-def: $vgpr33
                                        ; implicit-def: $vgpr35
                                        ; implicit-def: $vgpr31
                                        ; implicit-def: $vgpr5
                                        ; implicit-def: $vgpr51
                                        ; implicit-def: $vgpr55
	s_xor_b64 exec, exec, s[4:5]
	s_cbranch_execz .LBB0_13
; %bb.12:
	v_mad_u64_u32 v[0:1], s[0:1], s2, v8, 0
	v_add_u32_e32 v12, 0x140, v8
	v_mov_b32_e32 v4, s13
	v_mad_u64_u32 v[1:2], s[0:1], s3, v8, v[1:2]
	v_mad_u64_u32 v[2:3], s[0:1], s2, v12, 0
	v_add_co_u32_e64 v9, s[0:1], s12, v10
	v_addc_co_u32_e64 v15, s[0:1], v4, v11, s[0:1]
	v_mad_u64_u32 v[3:4], s[0:1], s3, v12, v[3:4]
	v_add_u32_e32 v13, 0x280, v8
	v_mad_u64_u32 v[4:5], s[0:1], s2, v13, 0
	v_lshlrev_b64 v[0:1], 3, v[0:1]
	v_add_u32_e32 v14, 0x3c0, v8
	v_add_co_u32_e64 v25, s[0:1], v9, v0
	v_addc_co_u32_e64 v26, s[0:1], v15, v1, s[0:1]
	v_lshlrev_b64 v[0:1], 3, v[2:3]
	v_mov_b32_e32 v2, v5
	v_mad_u64_u32 v[2:3], s[0:1], s3, v13, v[2:3]
	v_mad_u64_u32 v[6:7], s[0:1], s2, v14, 0
	v_add_co_u32_e64 v27, s[0:1], v9, v0
	v_mov_b32_e32 v5, v2
	v_mov_b32_e32 v2, v7
	v_addc_co_u32_e64 v28, s[0:1], v15, v1, s[0:1]
	v_mad_u64_u32 v[2:3], s[0:1], s3, v14, v[2:3]
	v_or_b32_e32 v17, 0x500, v8
	v_lshlrev_b64 v[0:1], 3, v[4:5]
	v_mad_u64_u32 v[3:4], s[0:1], s2, v17, 0
	v_add_co_u32_e64 v29, s[0:1], v9, v0
	v_mov_b32_e32 v7, v2
	v_mov_b32_e32 v2, v4
	v_addc_co_u32_e64 v30, s[0:1], v15, v1, s[0:1]
	v_lshlrev_b64 v[0:1], 3, v[6:7]
	v_mad_u64_u32 v[4:5], s[0:1], s3, v17, v[2:3]
	v_add_u32_e32 v7, 0x640, v8
	v_mad_u64_u32 v[5:6], s[0:1], s2, v7, 0
	v_add_co_u32_e64 v31, s[0:1], v9, v0
	v_mov_b32_e32 v2, v6
	v_addc_co_u32_e64 v32, s[0:1], v15, v1, s[0:1]
	v_lshlrev_b64 v[0:1], 3, v[3:4]
	v_mad_u64_u32 v[2:3], s[0:1], s3, v7, v[2:3]
	v_add_u32_e32 v7, 0x780, v8
	v_mad_u64_u32 v[3:4], s[0:1], s2, v7, 0
	v_add_co_u32_e64 v33, s[0:1], v9, v0
	v_mov_b32_e32 v6, v2
	v_mov_b32_e32 v2, v4
	v_addc_co_u32_e64 v34, s[0:1], v15, v1, s[0:1]
	v_lshlrev_b64 v[0:1], 3, v[5:6]
	v_mad_u64_u32 v[4:5], s[0:1], s3, v7, v[2:3]
	v_add_u32_e32 v7, 0x8c0, v8
	v_mad_u64_u32 v[5:6], s[0:1], s2, v7, 0
	v_add_co_u32_e64 v56, s[0:1], v9, v0
	v_mov_b32_e32 v2, v6
	v_addc_co_u32_e64 v57, s[0:1], v15, v1, s[0:1]
	v_lshlrev_b64 v[0:1], 3, v[3:4]
	v_mad_u64_u32 v[2:3], s[0:1], s3, v7, v[2:3]
	v_or_b32_e32 v7, 0xa00, v8
	v_mad_u64_u32 v[3:4], s[0:1], s2, v7, 0
	v_add_co_u32_e64 v58, s[0:1], v9, v0
	v_mov_b32_e32 v6, v2
	v_mov_b32_e32 v2, v4
	v_addc_co_u32_e64 v59, s[0:1], v15, v1, s[0:1]
	v_lshlrev_b64 v[0:1], 3, v[5:6]
	v_mad_u64_u32 v[4:5], s[0:1], s3, v7, v[2:3]
	v_add_u32_e32 v7, 0xb40, v8
	v_mad_u64_u32 v[5:6], s[0:1], s2, v7, 0
	v_add_co_u32_e64 v60, s[0:1], v9, v0
	v_mov_b32_e32 v2, v6
	v_addc_co_u32_e64 v61, s[0:1], v15, v1, s[0:1]
	v_lshlrev_b64 v[0:1], 3, v[3:4]
	v_mad_u64_u32 v[2:3], s[0:1], s3, v7, v[2:3]
	v_add_u32_e32 v16, 0xa0, v8
	v_mad_u64_u32 v[3:4], s[0:1], s2, v16, 0
	v_add_co_u32_e64 v62, s[0:1], v9, v0
	v_mov_b32_e32 v6, v2
	v_mov_b32_e32 v2, v4
	v_addc_co_u32_e64 v63, s[0:1], v15, v1, s[0:1]
	v_lshlrev_b64 v[0:1], 3, v[5:6]
	v_mad_u64_u32 v[4:5], s[0:1], s3, v16, v[2:3]
	v_add_u32_e32 v19, 0x1e0, v8
	v_mad_u64_u32 v[5:6], s[0:1], s2, v19, 0
	v_add_co_u32_e64 v64, s[0:1], v9, v0
	v_mov_b32_e32 v2, v6
	v_addc_co_u32_e64 v65, s[0:1], v15, v1, s[0:1]
	v_lshlrev_b64 v[0:1], 3, v[3:4]
	v_mad_u64_u32 v[2:3], s[0:1], s3, v19, v[2:3]
	v_add_u32_e32 v20, 0x320, v8
	;; [unrolled: 15-line block ×5, first 2 shown]
	v_mad_u64_u32 v[3:4], s[0:1], s2, v7, 0
	v_add_co_u32_e64 v78, s[0:1], v9, v0
	v_mov_b32_e32 v6, v2
	v_mov_b32_e32 v2, v4
	v_addc_co_u32_e64 v79, s[0:1], v15, v1, s[0:1]
	v_lshlrev_b64 v[0:1], 3, v[5:6]
	v_mad_u64_u32 v[4:5], s[0:1], s3, v7, v[2:3]
	v_add_u32_e32 v7, 0xbe0, v8
	v_mad_u64_u32 v[5:6], s[0:1], s2, v7, 0
	v_add_co_u32_e64 v80, s[0:1], v9, v0
	v_mov_b32_e32 v2, v6
	v_addc_co_u32_e64 v81, s[0:1], v15, v1, s[0:1]
	v_lshlrev_b64 v[0:1], 3, v[3:4]
	v_mad_u64_u32 v[2:3], s[0:1], s3, v7, v[2:3]
	v_add_co_u32_e64 v82, s[0:1], v9, v0
	v_mov_b32_e32 v6, v2
	v_addc_co_u32_e64 v83, s[0:1], v15, v1, s[0:1]
	v_lshlrev_b64 v[0:1], 3, v[5:6]
	v_add_co_u32_e64 v84, s[0:1], v9, v0
	v_addc_co_u32_e64 v85, s[0:1], v15, v1, s[0:1]
	global_load_dwordx2 v[2:3], v[25:26], off
	global_load_dwordx2 v[36:37], v[27:28], off
	;; [unrolled: 1-line block ×15, first 2 shown]
                                        ; kill: killed $vgpr64 killed $vgpr65
                                        ; kill: killed $vgpr33 killed $vgpr34
                                        ; kill: killed $vgpr66 killed $vgpr67
                                        ; kill: killed $vgpr58 killed $vgpr59
                                        ; kill: killed $vgpr68 killed $vgpr69
                                        ; kill: killed $vgpr25 killed $vgpr26
                                        ; kill: killed $vgpr62 killed $vgpr63
                                        ; kill: killed $vgpr70 killed $vgpr71
                                        ; kill: killed $vgpr27 killed $vgpr28
                                        ; kill: killed $vgpr56 killed $vgpr57
                                        ; kill: killed $vgpr72 killed $vgpr73
                                        ; kill: killed $vgpr29 killed $vgpr30
                                        ; kill: killed $vgpr60 killed $vgpr61
                                        ; kill: killed $vgpr74 killed $vgpr75
                                        ; kill: killed $vgpr31 killed $vgpr32
	global_load_dwordx2 v[30:31], v[76:77], off
	global_load_dwordx2 v[28:29], v[78:79], off
	;; [unrolled: 1-line block ×5, first 2 shown]
.LBB0_13:
	s_or_b64 exec, exec, s[4:5]
	s_waitcnt vmcnt(15)
	v_sub_f32_e32 v9, v38, v44
	s_waitcnt vmcnt(11)
	v_sub_f32_e32 v15, v48, v42
	v_add_f32_e32 v9, v9, v15
	v_add_f32_e32 v15, v44, v42
	;; [unrolled: 1-line block ×3, first 2 shown]
	v_fma_f32 v15, -0.5, v15, v2
	v_add_f32_e32 v18, v2, v38
	v_fmac_f32_e32 v2, -0.5, v25
	v_sub_f32_e32 v60, v45, v43
	v_mov_b32_e32 v61, v2
	v_sub_f32_e32 v25, v44, v38
	v_sub_f32_e32 v56, v42, v48
	v_fmac_f32_e32 v61, 0xbf737871, v60
	v_sub_f32_e32 v62, v39, v49
	v_fmac_f32_e32 v2, 0x3f737871, v60
	v_add_f32_e32 v25, v25, v56
	v_fmac_f32_e32 v61, 0x3f167918, v62
	v_fmac_f32_e32 v2, 0xbf167918, v62
	;; [unrolled: 1-line block ×4, first 2 shown]
	v_sub_f32_e32 v25, v54, v40
	s_waitcnt vmcnt(10)
	v_sub_f32_e32 v56, v46, v50
	v_add_f32_e32 v25, v56, v25
	v_add_f32_e32 v56, v40, v50
	;; [unrolled: 1-line block ×3, first 2 shown]
	v_fma_f32 v56, -0.5, v56, v36
	v_add_f32_e32 v58, v36, v54
	v_fmac_f32_e32 v36, -0.5, v57
	v_sub_f32_e32 v63, v41, v51
	v_mov_b32_e32 v64, v36
	v_sub_f32_e32 v57, v40, v54
	v_sub_f32_e32 v59, v50, v46
	v_fmac_f32_e32 v64, 0xbf737871, v63
	v_sub_f32_e32 v65, v55, v47
	v_fmac_f32_e32 v36, 0x3f737871, v63
	v_add_f32_e32 v57, v59, v57
	v_fmac_f32_e32 v64, 0x3f167918, v65
	v_fmac_f32_e32 v36, 0xbf167918, v65
	;; [unrolled: 1-line block ×4, first 2 shown]
	v_sub_f32_e32 v57, v55, v41
	v_sub_f32_e32 v59, v47, v51
	v_add_f32_e32 v66, v59, v57
	v_add_f32_e32 v57, v41, v51
	v_fma_f32 v57, -0.5, v57, v37
	v_add_f32_e32 v59, v47, v55
	v_sub_f32_e32 v69, v40, v50
	v_add_f32_e32 v40, v40, v58
	v_add_f32_e32 v67, v37, v55
	v_fmac_f32_e32 v37, -0.5, v59
	v_sub_f32_e32 v68, v54, v46
	v_add_f32_e32 v40, v50, v40
	v_mov_b32_e32 v50, v57
	v_mov_b32_e32 v70, v37
	v_add_f32_e32 v40, v46, v40
	v_mov_b32_e32 v46, v56
	v_fmac_f32_e32 v50, 0xbf737871, v68
	v_sub_f32_e32 v54, v41, v55
	v_sub_f32_e32 v55, v51, v47
	v_fmac_f32_e32 v70, 0x3f737871, v69
	v_fmac_f32_e32 v37, 0xbf737871, v69
	v_mov_b32_e32 v71, v15
	v_fmac_f32_e32 v46, 0x3f737871, v65
	v_fmac_f32_e32 v50, 0xbf167918, v69
	;; [unrolled: 1-line block ×3, first 2 shown]
	v_add_f32_e32 v54, v55, v54
	v_fmac_f32_e32 v70, 0xbf167918, v68
	v_fmac_f32_e32 v37, 0x3f167918, v68
	v_add_f32_e32 v18, v18, v44
	v_fmac_f32_e32 v71, 0x3f737871, v62
	v_fmac_f32_e32 v46, 0x3f167918, v63
	;; [unrolled: 1-line block ×8, first 2 shown]
	v_add_f32_e32 v18, v18, v42
	s_mov_b32 s0, 0x3f737871
	v_fmac_f32_e32 v71, 0x3f167918, v60
	v_fmac_f32_e32 v46, 0x3e9e377a, v25
	v_mul_f32_e32 v72, 0x3f167918, v50
	v_mul_f32_e32 v73, 0x3e9e377a, v64
	;; [unrolled: 1-line block ×3, first 2 shown]
	v_fmac_f32_e32 v15, 0xbf167918, v60
	v_fmac_f32_e32 v56, 0x3e9e377a, v25
	v_fmac_f32_e32 v57, 0x3f167918, v69
	v_add_f32_e32 v18, v18, v48
	v_fmac_f32_e32 v71, 0x3e9e377a, v9
	v_fmac_f32_e32 v72, 0x3f4f1bbd, v46
	;; [unrolled: 1-line block ×3, first 2 shown]
	v_fma_f32 v74, v37, s0, -v58
	v_mul_u32_u24_e32 v75, 10, v8
	v_fmac_f32_e32 v15, 0x3e9e377a, v9
	v_fmac_f32_e32 v57, 0x3e9e377a, v66
	s_mov_b32 s1, 0x3f167918
	v_mul_f32_e32 v9, 0x3f4f1bbd, v56
	v_add_f32_e32 v54, v18, v40
	v_add_f32_e32 v55, v71, v72
	;; [unrolled: 1-line block ×4, first 2 shown]
	v_lshl_add_u32 v75, v75, 2, 0
	v_fma_f32 v9, v57, s1, -v9
	ds_write2_b64 v75, v[54:55], v[58:59] offset1:1
	v_sub_f32_e32 v54, v71, v72
	v_sub_f32_e32 v55, v61, v73
	;; [unrolled: 1-line block ×3, first 2 shown]
	v_add_f32_e32 v58, v15, v9
	ds_write2_b64 v75, v[58:59], v[54:55] offset0:2 offset1:3
	v_sub_f32_e32 v55, v15, v9
	v_sub_f32_e32 v54, v2, v74
	s_waitcnt vmcnt(5)
	v_sub_f32_e32 v2, v6, v23
	s_waitcnt vmcnt(1)
	v_sub_f32_e32 v9, v32, v28
	v_add_f32_e32 v2, v2, v9
	v_add_f32_e32 v9, v23, v28
	v_add_f32_e32 v18, v6, v32
	v_fma_f32 v9, -0.5, v9, v0
	v_add_f32_e32 v15, v0, v6
	v_fmac_f32_e32 v0, -0.5, v18
	ds_write_b64 v75, v[54:55] offset:32
	v_sub_f32_e32 v40, v24, v29
	v_mov_b32_e32 v54, v0
	v_sub_f32_e32 v18, v23, v6
	v_sub_f32_e32 v25, v28, v32
	v_fmac_f32_e32 v54, 0xbf737871, v40
	v_sub_f32_e32 v55, v7, v33
	v_fmac_f32_e32 v0, 0x3f737871, v40
	v_add_f32_e32 v18, v18, v25
	v_fmac_f32_e32 v54, 0x3f167918, v55
	v_fmac_f32_e32 v0, 0xbf167918, v55
	;; [unrolled: 1-line block ×4, first 2 shown]
	v_sub_f32_e32 v18, v52, v30
	s_waitcnt vmcnt(0)
	v_sub_f32_e32 v25, v34, v26
	v_add_f32_e32 v18, v25, v18
	v_add_f32_e32 v25, v26, v30
	;; [unrolled: 1-line block ×3, first 2 shown]
	v_fma_f32 v58, -0.5, v25, v4
	v_add_f32_e32 v25, v52, v4
	v_fmac_f32_e32 v4, -0.5, v59
	v_sub_f32_e32 v59, v30, v52
	v_sub_f32_e32 v60, v26, v34
	v_add_f32_e32 v59, v60, v59
	v_sub_f32_e32 v60, v31, v27
	v_mov_b32_e32 v65, v4
	v_fmac_f32_e32 v65, 0xbf737871, v60
	v_sub_f32_e32 v61, v53, v35
	v_fmac_f32_e32 v4, 0x3f737871, v60
	v_fmac_f32_e32 v65, 0x3f167918, v61
	;; [unrolled: 1-line block ×5, first 2 shown]
	v_sub_f32_e32 v59, v53, v31
	v_sub_f32_e32 v62, v35, v27
	v_add_f32_e32 v59, v62, v59
	v_add_f32_e32 v62, v27, v31
	v_fma_f32 v66, -0.5, v62, v5
	v_add_f32_e32 v62, v53, v35
	v_add_f32_e32 v68, v53, v5
	v_fmac_f32_e32 v5, -0.5, v62
	v_mov_b32_e32 v72, v58
	v_sub_f32_e32 v62, v52, v34
	v_sub_f32_e32 v63, v30, v26
	v_mov_b32_e32 v69, v5
	v_fmac_f32_e32 v72, 0x3f737871, v61
	v_mov_b32_e32 v73, v66
	v_sub_f32_e32 v52, v31, v53
	v_sub_f32_e32 v53, v27, v35
	v_fmac_f32_e32 v69, 0x3f737871, v63
	v_fmac_f32_e32 v5, 0xbf737871, v63
	v_mov_b32_e32 v71, v9
	v_fmac_f32_e32 v72, 0x3f167918, v60
	v_fmac_f32_e32 v73, 0xbf737871, v62
	v_add_f32_e32 v52, v53, v52
	v_fmac_f32_e32 v69, 0xbf167918, v62
	v_fmac_f32_e32 v5, 0x3f167918, v62
	v_add_f32_e32 v15, v15, v23
	v_fmac_f32_e32 v71, 0x3f737871, v55
	v_add_f32_e32 v25, v30, v25
	v_fmac_f32_e32 v72, 0x3e9e377a, v18
	v_fmac_f32_e32 v73, 0xbf167918, v63
	;; [unrolled: 1-line block ×4, first 2 shown]
	v_add_f32_e32 v15, v15, v28
	v_fmac_f32_e32 v71, 0x3f167918, v40
	v_add_f32_e32 v25, v26, v25
	v_fmac_f32_e32 v73, 0x3e9e377a, v59
	v_mul_f32_e32 v74, 0x3f4f1bbd, v72
	v_mul_f32_e32 v76, 0x3e9e377a, v65
	;; [unrolled: 1-line block ×3, first 2 shown]
	v_fmac_f32_e32 v58, 0xbf737871, v61
	v_add_f32_e32 v15, v15, v32
	v_fmac_f32_e32 v71, 0x3e9e377a, v2
	v_add_f32_e32 v34, v34, v25
	v_fmac_f32_e32 v74, 0x3f167918, v73
	v_fmac_f32_e32 v76, 0x3f737871, v69
	v_fma_f32 v77, v5, s0, -v30
	v_mul_i32_i24_e32 v30, 10, v16
	v_fmac_f32_e32 v9, 0xbf737871, v55
	v_fmac_f32_e32 v58, 0xbf167918, v60
	;; [unrolled: 1-line block ×3, first 2 shown]
	v_add_f32_e32 v25, v15, v34
	v_add_f32_e32 v26, v71, v74
	;; [unrolled: 1-line block ×4, first 2 shown]
	v_lshl_add_u32 v30, v30, 2, 0
	v_fmac_f32_e32 v9, 0xbf167918, v40
	v_fmac_f32_e32 v58, 0x3e9e377a, v18
	v_fmac_f32_e32 v66, 0x3f167918, v63
	ds_write2_b64 v30, v[25:26], v[52:53] offset1:1
	v_fmac_f32_e32 v9, 0x3e9e377a, v2
	v_fmac_f32_e32 v66, 0x3e9e377a, v59
	v_mul_f32_e32 v2, 0x3f4f1bbd, v58
	v_sub_f32_e32 v53, v15, v34
	v_add_f32_e32 v15, v3, v39
	v_fma_f32 v2, v66, s1, -v2
	v_add_f32_e32 v15, v15, v45
	v_add_f32_e32 v18, v45, v43
	v_sub_f32_e32 v34, v39, v45
	v_sub_f32_e32 v40, v45, v39
	;; [unrolled: 1-line block ×3, first 2 shown]
	v_add_f32_e32 v38, v39, v49
	v_sub_f32_e32 v25, v71, v74
	v_sub_f32_e32 v26, v54, v76
	v_add_f32_e32 v52, v9, v2
	v_fma_f32 v54, -0.5, v18, v3
	v_fmac_f32_e32 v3, -0.5, v38
	ds_write2_b64 v30, v[52:53], v[25:26] offset0:2 offset1:3
	v_sub_f32_e32 v52, v44, v42
	v_add_f32_e32 v15, v15, v43
	v_mov_b32_e32 v55, v3
	v_sub_f32_e32 v39, v49, v43
	v_sub_f32_e32 v42, v43, v49
	v_add_f32_e32 v49, v15, v49
	v_add_f32_e32 v15, v41, v67
	v_fmac_f32_e32 v55, 0x3f737871, v52
	v_fmac_f32_e32 v3, 0xbf737871, v52
	v_mul_f32_e32 v59, 0xbf737871, v64
	v_mov_b32_e32 v64, v54
	v_add_f32_e32 v15, v51, v15
	v_sub_f32_e32 v26, v9, v2
	v_add_f32_e32 v2, v40, v42
	v_fmac_f32_e32 v55, 0xbf167918, v45
	v_fmac_f32_e32 v3, 0x3f167918, v45
	;; [unrolled: 1-line block ×4, first 2 shown]
	v_add_f32_e32 v47, v47, v15
	s_mov_b32 s4, 0xbf737871
	v_mul_f32_e32 v15, 0x3e9e377a, v37
	v_sub_f32_e32 v25, v0, v77
	v_add_f32_e32 v0, v34, v39
	v_fmac_f32_e32 v55, 0x3e9e377a, v2
	v_fmac_f32_e32 v3, 0x3e9e377a, v2
	v_mul_f32_e32 v2, 0xbf167918, v46
	v_fmac_f32_e32 v64, 0xbf167918, v52
	s_movk_i32 s5, 0xffdc
	v_fmac_f32_e32 v54, 0x3f167918, v52
	v_fma_f32 v53, v36, s4, -v15
	v_fmac_f32_e32 v2, 0x3f4f1bbd, v50
	v_fmac_f32_e32 v59, 0x3e9e377a, v70
	;; [unrolled: 1-line block ×3, first 2 shown]
	v_mad_i32_i24 v34, v8, s5, v75
	v_mad_i32_i24 v15, v16, s5, v30
	v_fmac_f32_e32 v54, 0x3e9e377a, v0
	s_mov_b32 s5, 0xbf167918
	v_mul_f32_e32 v0, 0x3f4f1bbd, v57
	v_add_f32_e32 v40, v49, v47
	v_add_f32_e32 v41, v64, v2
	;; [unrolled: 1-line block ×4, first 2 shown]
	v_add_u32_e32 v93, 0x1800, v34
	v_fma_f32 v0, v56, s5, -v0
	ds_write_b64 v30, v[25:26] offset:32
	s_waitcnt lgkmcnt(0)
	s_barrier
	v_lshl_add_u32 v9, v12, 2, 0
	v_lshl_add_u32 v36, v13, 2, 0
	;; [unrolled: 1-line block ×4, first 2 shown]
	v_add_u32_e32 v94, 0x1e00, v34
	v_add_u32_e32 v95, 0x2200, v34
	;; [unrolled: 1-line block ×4, first 2 shown]
	ds_read_b32 v39, v34
	ds_read_b32 v51, v9
	;; [unrolled: 1-line block ×6, first 2 shown]
	v_add_u32_e32 v91, 0x80, v34
	ds_read2_b32 v[62:63], v93 offset0:64 offset1:224
	ds_read2_b32 v[83:84], v94 offset1:160
	ds_read2_b32 v[85:86], v95 offset0:64 offset1:224
	ds_read2_b32 v[87:88], v96 offset1:160
	ds_read2_b32 v[25:26], v44 offset0:64 offset1:224
	ds_read2st64_b32 v[60:61], v91 offset0:7 offset1:12
	ds_read2st64_b32 v[89:90], v91 offset0:17 offset1:22
	s_waitcnt lgkmcnt(0)
	s_barrier
	ds_write2_b64 v75, v[40:41], v[42:43] offset1:1
	v_sub_f32_e32 v40, v64, v2
	v_add_f32_e32 v42, v54, v0
	v_sub_f32_e32 v2, v3, v53
	v_sub_f32_e32 v3, v54, v0
	v_add_f32_e32 v0, v1, v7
	v_add_f32_e32 v0, v0, v24
	ds_write_b64 v75, v[2:3] offset:32
	v_add_f32_e32 v2, v24, v29
	v_sub_f32_e32 v3, v7, v24
	v_sub_f32_e32 v24, v24, v7
	v_add_f32_e32 v7, v7, v33
	v_add_f32_e32 v0, v0, v29
	v_sub_f32_e32 v6, v6, v32
	v_add_f32_e32 v32, v0, v33
	v_add_f32_e32 v0, v31, v68
	v_fma_f32 v31, -0.5, v2, v1
	v_fmac_f32_e32 v1, -0.5, v7
	v_sub_f32_e32 v23, v23, v28
	v_sub_f32_e32 v28, v33, v29
	;; [unrolled: 1-line block ×3, first 2 shown]
	v_mov_b32_e32 v7, v1
	v_mov_b32_e32 v33, v31
	v_add_f32_e32 v0, v27, v0
	v_fmac_f32_e32 v7, 0x3f737871, v23
	v_fmac_f32_e32 v1, 0xbf737871, v23
	;; [unrolled: 1-line block ×3, first 2 shown]
	v_add_f32_e32 v27, v35, v0
	v_mul_f32_e32 v0, 0x3e9e377a, v5
	v_add_f32_e32 v28, v3, v28
	v_add_f32_e32 v2, v24, v29
	v_fmac_f32_e32 v7, 0xbf167918, v6
	v_fmac_f32_e32 v1, 0x3f167918, v6
	v_mul_f32_e32 v24, 0xbf167918, v72
	v_mul_f32_e32 v29, 0xbf737871, v65
	v_fmac_f32_e32 v33, 0xbf167918, v23
	v_fma_f32 v0, v4, s4, -v0
	v_fmac_f32_e32 v7, 0x3e9e377a, v2
	v_fmac_f32_e32 v1, 0x3e9e377a, v2
	;; [unrolled: 1-line block ×5, first 2 shown]
	v_sub_f32_e32 v41, v55, v59
	v_sub_f32_e32 v43, v49, v47
	v_add_f32_e32 v2, v32, v27
	v_add_f32_e32 v3, v33, v24
	;; [unrolled: 1-line block ×4, first 2 shown]
	v_fmac_f32_e32 v31, 0x3f737871, v6
	ds_write2_b64 v75, v[42:43], v[40:41] offset0:2 offset1:3
	ds_write2_b64 v30, v[2:3], v[4:5] offset1:1
	v_fmac_f32_e32 v31, 0x3f167918, v23
	v_mul_f32_e32 v4, 0x3f4f1bbd, v66
	v_fmac_f32_e32 v31, 0x3e9e377a, v28
	v_fma_f32 v6, v58, s5, -v4
	v_sub_f32_e32 v2, v33, v24
	v_sub_f32_e32 v3, v7, v29
	;; [unrolled: 1-line block ×4, first 2 shown]
	v_add_f32_e32 v4, v31, v6
	s_mov_b32 s6, 0xcccd
	v_sub_f32_e32 v1, v31, v6
	ds_write2_b64 v30, v[4:5], v[2:3] offset0:2 offset1:3
	ds_write_b64 v30, v[0:1] offset:32
	v_mul_u32_u24_sdwa v0, v16, s6 dst_sel:DWORD dst_unused:UNUSED_PAD src0_sel:WORD_0 src1_sel:DWORD
	v_lshrrev_b32_e32 v29, 19, v0
	v_mul_lo_u16_e32 v0, 10, v29
	v_sub_u16_e32 v31, v16, v0
	v_mul_u32_u24_e32 v0, 9, v31
	v_lshlrev_b32_e32 v27, 3, v0
	s_waitcnt lgkmcnt(0)
	s_barrier
	global_load_dwordx4 v[52:55], v27, s[8:9]
	global_load_dwordx4 v[56:59], v27, s[8:9] offset:16
	s_movk_i32 s6, 0xcd
	v_mul_lo_u16_sdwa v0, v8, s6 dst_sel:DWORD dst_unused:UNUSED_PAD src0_sel:BYTE_0 src1_sel:DWORD
	v_lshrrev_b16_e32 v64, 11, v0
	v_mul_lo_u16_e32 v0, 10, v64
	v_sub_u16_e32 v65, v8, v0
	v_mov_b32_e32 v0, 9
	v_mul_u32_u24_sdwa v0, v65, v0 dst_sel:DWORD dst_unused:UNUSED_PAD src0_sel:BYTE_0 src1_sel:DWORD
	v_lshlrev_b32_e32 v23, 3, v0
	global_load_dwordx4 v[67:70], v23, s[8:9] offset:32
	global_load_dwordx4 v[71:74], v27, s[8:9] offset:32
	;; [unrolled: 1-line block ×4, first 2 shown]
	global_load_dwordx4 v[0:3], v23, s[8:9]
	global_load_dwordx4 v[4:7], v23, s[8:9] offset:16
	ds_read2st64_b32 v[32:33], v91 offset0:7 offset1:12
	global_load_dwordx2 v[23:24], v23, s[8:9] offset:64
	ds_read2st64_b32 v[91:92], v91 offset0:17 offset1:22
	global_load_dwordx2 v[27:28], v27, s[8:9] offset:64
	s_waitcnt vmcnt(9) lgkmcnt(1)
	v_mul_f32_e32 v35, v32, v53
	v_mul_f32_e32 v41, v60, v53
	v_fma_f32 v40, v60, v52, -v35
	v_fmac_f32_e32 v41, v32, v52
	ds_read2_b32 v[52:53], v93 offset0:64 offset1:224
	v_mul_f32_e32 v35, v33, v55
	v_mul_f32_e32 v42, v61, v55
	v_fma_f32 v45, v61, v54, -v35
	v_fmac_f32_e32 v42, v33, v54
	s_waitcnt vmcnt(8) lgkmcnt(1)
	v_mul_f32_e32 v32, v91, v57
	ds_read2_b32 v[54:55], v94 offset1:160
	v_fma_f32 v61, v89, v56, -v32
	v_mul_f32_e32 v32, v92, v59
	v_fma_f32 v49, v90, v58, -v32
	s_waitcnt vmcnt(7) lgkmcnt(1)
	v_mul_f32_e32 v32, v52, v68
	v_fma_f32 v66, v62, v67, -v32
	v_mul_f32_e32 v32, v62, v68
	v_fmac_f32_e32 v32, v52, v67
	s_waitcnt vmcnt(6)
	v_mul_f32_e32 v35, v53, v72
	v_mul_f32_e32 v52, v63, v72
	;; [unrolled: 1-line block ×3, first 2 shown]
	s_waitcnt lgkmcnt(0)
	v_mul_f32_e32 v33, v54, v70
	v_mul_f32_e32 v57, v83, v70
	v_fma_f32 v62, v63, v71, -v35
	v_fmac_f32_e32 v52, v53, v71
	ds_read2_b32 v[70:71], v96 offset1:160
	v_fma_f32 v33, v83, v69, -v33
	v_fmac_f32_e32 v57, v54, v69
	ds_read2_b32 v[68:69], v95 offset0:64 offset1:224
	v_mul_f32_e32 v43, v90, v59
	s_waitcnt vmcnt(5) lgkmcnt(1)
	v_mul_f32_e32 v53, v70, v78
	v_mul_f32_e32 v35, v55, v74
	v_fma_f32 v59, v87, v77, -v53
	s_waitcnt vmcnt(4) lgkmcnt(0)
	v_mul_f32_e32 v53, v69, v80
	v_fma_f32 v54, v84, v73, -v35
	v_mul_f32_e32 v47, v84, v74
	v_mul_f32_e32 v35, v68, v76
	v_fma_f32 v63, v86, v79, -v53
	v_mul_f32_e32 v53, v71, v82
	v_fmac_f32_e32 v60, v91, v56
	v_fmac_f32_e32 v43, v92, v58
	;; [unrolled: 1-line block ×3, first 2 shown]
	v_fma_f32 v67, v85, v75, -v35
	v_mul_f32_e32 v35, v85, v76
	v_mul_f32_e32 v58, v87, v78
	;; [unrolled: 1-line block ×3, first 2 shown]
	v_fma_f32 v56, v88, v81, -v53
	v_mul_f32_e32 v53, v88, v82
	v_fmac_f32_e32 v35, v68, v75
	v_fmac_f32_e32 v58, v70, v77
	;; [unrolled: 1-line block ×4, first 2 shown]
	ds_read_b32 v68, v9
	ds_read_b32 v69, v36
	;; [unrolled: 1-line block ×6, first 2 shown]
	s_waitcnt vmcnt(3) lgkmcnt(5)
	v_mul_f32_e32 v74, v68, v1
	v_fma_f32 v74, v51, v0, -v74
	v_mul_f32_e32 v51, v51, v1
	v_fmac_f32_e32 v51, v68, v0
	s_waitcnt lgkmcnt(4)
	v_mul_f32_e32 v0, v69, v3
	v_fma_f32 v68, v50, v2, -v0
	v_mul_f32_e32 v50, v50, v3
	s_waitcnt vmcnt(2) lgkmcnt(3)
	v_mul_f32_e32 v0, v70, v5
	v_fmac_f32_e32 v50, v69, v2
	v_fma_f32 v2, v48, v4, -v0
	ds_read2_b32 v[0:1], v44 offset0:64 offset1:224
	v_mul_f32_e32 v3, v48, v5
	v_fmac_f32_e32 v3, v70, v4
	s_waitcnt lgkmcnt(3)
	v_mul_f32_e32 v4, v71, v7
	v_mul_f32_e32 v44, v46, v7
	v_fma_f32 v4, v46, v6, -v4
	v_fmac_f32_e32 v44, v71, v6
	s_waitcnt vmcnt(1) lgkmcnt(0)
	v_mul_f32_e32 v5, v0, v24
	v_mul_f32_e32 v6, v25, v24
	s_waitcnt vmcnt(0)
	v_mul_f32_e32 v46, v26, v28
	v_fma_f32 v5, v25, v23, -v5
	v_fmac_f32_e32 v6, v0, v23
	v_mul_f32_e32 v0, v1, v28
	v_fmac_f32_e32 v46, v1, v27
	v_sub_f32_e32 v1, v68, v4
	v_sub_f32_e32 v7, v59, v33
	v_add_f32_e32 v1, v1, v7
	v_sub_f32_e32 v7, v2, v66
	v_sub_f32_e32 v23, v5, v67
	v_add_f32_e32 v7, v7, v23
	;; [unrolled: 3-line block ×3, first 2 shown]
	v_mov_b32_e32 v24, 2
	v_add_f32_e32 v75, v32, v35
	v_lshlrev_b32_sdwa v24, v24, v65 dst_sel:DWORD dst_unused:UNUSED_PAD src0_sel:DWORD src1_sel:BYTE_0
	v_mul_u32_u24_e32 v25, 0x190, v64
	v_add_f32_e32 v65, v66, v67
	v_fma_f32 v75, -0.5, v75, v51
	v_fma_f32 v0, v26, v27, -v0
	v_add3_u32 v27, 0, v25, v24
	v_add_f32_e32 v25, v4, v33
	v_fma_f32 v69, -0.5, v65, v74
	v_sub_f32_e32 v76, v2, v5
	v_mov_b32_e32 v77, v75
	v_fma_f32 v25, -0.5, v25, v39
	v_sub_f32_e32 v65, v3, v6
	v_mov_b32_e32 v70, v69
	v_fmac_f32_e32 v77, 0xbf737871, v76
	v_sub_f32_e32 v78, v66, v67
	v_add_f32_e32 v24, v39, v68
	v_sub_f32_e32 v26, v50, v58
	v_mov_b32_e32 v28, v25
	v_add_f32_e32 v64, v74, v2
	v_fmac_f32_e32 v70, 0x3f737871, v65
	v_sub_f32_e32 v71, v32, v35
	v_fmac_f32_e32 v77, 0xbf167918, v78
	v_add_f32_e32 v24, v24, v4
	v_fmac_f32_e32 v28, 0x3f737871, v26
	v_sub_f32_e32 v48, v44, v57
	v_add_f32_e32 v64, v64, v66
	v_fmac_f32_e32 v70, 0x3f167918, v71
	v_fmac_f32_e32 v77, 0x3e9e377a, v23
	v_add_f32_e32 v24, v24, v33
	v_fmac_f32_e32 v28, 0x3f167918, v48
	v_add_f32_e32 v64, v64, v67
	v_fmac_f32_e32 v70, 0x3e9e377a, v7
	v_mul_f32_e32 v79, 0x3f167918, v77
	v_add_f32_e32 v24, v24, v59
	v_fmac_f32_e32 v28, 0x3e9e377a, v1
	v_add_f32_e32 v64, v64, v5
	v_fmac_f32_e32 v79, 0x3f4f1bbd, v70
	v_add_f32_e32 v80, v24, v64
	v_add_f32_e32 v81, v28, v79
	s_barrier
	ds_write2_b32 v27, v80, v81 offset1:10
	v_add_f32_e32 v80, v68, v59
	v_fmac_f32_e32 v39, -0.5, v80
	v_sub_f32_e32 v80, v4, v68
	v_sub_f32_e32 v81, v33, v59
	v_add_f32_e32 v80, v80, v81
	v_mov_b32_e32 v81, v39
	v_fmac_f32_e32 v81, 0xbf737871, v48
	v_fmac_f32_e32 v39, 0x3f737871, v48
	v_fmac_f32_e32 v81, 0x3f167918, v26
	v_fmac_f32_e32 v39, 0xbf167918, v26
	v_fmac_f32_e32 v81, 0x3e9e377a, v80
	v_fmac_f32_e32 v39, 0x3e9e377a, v80
	v_add_f32_e32 v80, v2, v5
	v_fmac_f32_e32 v74, -0.5, v80
	v_mov_b32_e32 v80, v74
	v_sub_f32_e32 v2, v66, v2
	v_sub_f32_e32 v5, v67, v5
	v_fmac_f32_e32 v80, 0xbf737871, v71
	v_fmac_f32_e32 v74, 0x3f737871, v71
	v_add_f32_e32 v2, v2, v5
	v_fmac_f32_e32 v80, 0x3f167918, v65
	v_fmac_f32_e32 v74, 0xbf167918, v65
	v_add_f32_e32 v5, v3, v6
	;; [unrolled: 3-line block ×3, first 2 shown]
	v_fmac_f32_e32 v51, -0.5, v5
	v_mov_b32_e32 v82, v51
	v_fmac_f32_e32 v69, 0xbf737871, v65
	v_sub_f32_e32 v3, v32, v3
	v_sub_f32_e32 v5, v35, v6
	v_fmac_f32_e32 v82, 0x3f737871, v78
	v_fmac_f32_e32 v69, 0xbf167918, v71
	;; [unrolled: 1-line block ×3, first 2 shown]
	v_add_f32_e32 v3, v3, v5
	v_fmac_f32_e32 v82, 0xbf167918, v76
	v_fmac_f32_e32 v51, 0xbf737871, v78
	;; [unrolled: 1-line block ×9, first 2 shown]
	v_mul_f32_e32 v7, 0x3f4f1bbd, v69
	v_fmac_f32_e32 v51, 0x3e9e377a, v3
	v_mul_f32_e32 v3, 0x3f737871, v82
	v_fmac_f32_e32 v25, 0x3e9e377a, v1
	v_fma_f32 v7, v75, s1, -v7
	v_fmac_f32_e32 v3, 0x3e9e377a, v80
	v_mul_f32_e32 v5, 0x3e9e377a, v74
	v_sub_f32_e32 v1, v24, v64
	v_add_f32_e32 v23, v25, v7
	v_fma_f32 v5, v51, s0, -v5
	v_add_f32_e32 v66, v81, v3
	ds_write2_b32 v27, v23, v1 offset0:40 offset1:50
	v_sub_f32_e32 v1, v28, v79
	v_sub_f32_e32 v3, v81, v3
	ds_write2_b32 v27, v1, v3 offset0:60 offset1:70
	v_sub_f32_e32 v1, v39, v5
	v_sub_f32_e32 v3, v25, v7
	;; [unrolled: 3-line block ×3, first 2 shown]
	v_add_f32_e32 v67, v39, v5
	v_add_f32_e32 v1, v1, v3
	v_sub_f32_e32 v3, v61, v62
	v_sub_f32_e32 v5, v0, v63
	v_add_f32_e32 v3, v3, v5
	v_sub_f32_e32 v5, v60, v52
	v_sub_f32_e32 v7, v46, v55
	v_add_f32_e32 v64, v52, v55
	v_add_f32_e32 v5, v5, v7
	v_mul_u32_u24_e32 v7, 0x190, v29
	v_lshlrev_b32_e32 v23, 2, v31
	v_add_f32_e32 v29, v62, v63
	v_fma_f32 v76, -0.5, v64, v41
	v_add3_u32 v39, 0, v7, v23
	v_add_f32_e32 v23, v49, v54
	v_fma_f32 v48, -0.5, v29, v40
	v_sub_f32_e32 v64, v61, v0
	v_mov_b32_e32 v78, v76
	v_fma_f32 v23, -0.5, v23, v18
	v_sub_f32_e32 v29, v60, v46
	v_mov_b32_e32 v71, v48
	v_fmac_f32_e32 v78, 0xbf737871, v64
	v_sub_f32_e32 v65, v62, v63
	v_add_f32_e32 v7, v18, v45
	v_sub_f32_e32 v24, v42, v53
	v_mov_b32_e32 v25, v23
	v_add_f32_e32 v28, v40, v61
	v_fmac_f32_e32 v71, 0x3f737871, v29
	v_sub_f32_e32 v31, v52, v55
	v_fmac_f32_e32 v78, 0xbf167918, v65
	v_add_f32_e32 v7, v7, v49
	v_fmac_f32_e32 v25, 0x3f737871, v24
	v_sub_f32_e32 v26, v43, v47
	v_add_f32_e32 v28, v28, v62
	v_fmac_f32_e32 v71, 0x3f167918, v31
	v_fmac_f32_e32 v78, 0x3e9e377a, v5
	ds_write2_b32 v27, v66, v67 offset0:20 offset1:30
	v_add_f32_e32 v7, v7, v54
	v_fmac_f32_e32 v25, 0x3f167918, v26
	v_add_f32_e32 v28, v28, v63
	v_fmac_f32_e32 v71, 0x3e9e377a, v3
	v_mul_f32_e32 v66, 0x3f167918, v78
	v_add_f32_e32 v7, v7, v56
	v_fmac_f32_e32 v25, 0x3e9e377a, v1
	v_add_f32_e32 v28, v28, v0
	v_fmac_f32_e32 v66, 0x3f4f1bbd, v71
	v_add_f32_e32 v67, v7, v28
	v_add_f32_e32 v79, v25, v66
	ds_write2_b32 v39, v67, v79 offset1:10
	v_add_f32_e32 v67, v45, v56
	v_fmac_f32_e32 v18, -0.5, v67
	v_sub_f32_e32 v67, v49, v45
	v_sub_f32_e32 v79, v54, v56
	v_add_f32_e32 v67, v67, v79
	v_mov_b32_e32 v79, v18
	v_fmac_f32_e32 v79, 0xbf737871, v26
	v_fmac_f32_e32 v18, 0x3f737871, v26
	v_fmac_f32_e32 v79, 0x3f167918, v24
	v_fmac_f32_e32 v18, 0xbf167918, v24
	v_fmac_f32_e32 v79, 0x3e9e377a, v67
	v_fmac_f32_e32 v18, 0x3e9e377a, v67
	v_add_f32_e32 v67, v61, v0
	v_fmac_f32_e32 v40, -0.5, v67
	v_mov_b32_e32 v81, v40
	v_sub_f32_e32 v61, v62, v61
	v_sub_f32_e32 v0, v63, v0
	v_fmac_f32_e32 v81, 0xbf737871, v31
	v_fmac_f32_e32 v40, 0x3f737871, v31
	v_add_f32_e32 v0, v61, v0
	v_fmac_f32_e32 v81, 0x3f167918, v29
	v_fmac_f32_e32 v40, 0xbf167918, v29
	v_add_f32_e32 v61, v60, v46
	v_fmac_f32_e32 v81, 0x3e9e377a, v0
	v_fmac_f32_e32 v40, 0x3e9e377a, v0
	v_add_f32_e32 v0, v41, v60
	v_fmac_f32_e32 v41, -0.5, v61
	v_mov_b32_e32 v83, v41
	v_fmac_f32_e32 v48, 0xbf737871, v29
	v_sub_f32_e32 v60, v52, v60
	v_sub_f32_e32 v61, v55, v46
	v_fmac_f32_e32 v83, 0x3f737871, v65
	v_fmac_f32_e32 v48, 0xbf167918, v31
	;; [unrolled: 1-line block ×3, first 2 shown]
	v_add_f32_e32 v2, v2, v32
	v_add_f32_e32 v60, v60, v61
	v_fmac_f32_e32 v83, 0xbf167918, v64
	v_fmac_f32_e32 v41, 0xbf737871, v65
	;; [unrolled: 1-line block ×5, first 2 shown]
	v_add_f32_e32 v2, v2, v35
	v_fmac_f32_e32 v83, 0x3e9e377a, v60
	v_fmac_f32_e32 v41, 0x3f167918, v64
	;; [unrolled: 1-line block ×4, first 2 shown]
	v_mul_f32_e32 v3, 0x3f4f1bbd, v48
	v_add_f32_e32 v6, v2, v6
	v_add_f32_e32 v2, v73, v50
	v_fmac_f32_e32 v41, 0x3e9e377a, v60
	v_mul_f32_e32 v60, 0x3f737871, v83
	v_fmac_f32_e32 v23, 0x3e9e377a, v1
	v_fma_f32 v3, v76, s1, -v3
	v_add_f32_e32 v2, v2, v44
	v_fmac_f32_e32 v60, 0x3e9e377a, v81
	v_mul_f32_e32 v61, 0x3e9e377a, v40
	v_sub_f32_e32 v1, v7, v28
	v_add_f32_e32 v5, v23, v3
	v_mul_f32_e32 v70, 0xbf167918, v70
	v_add_f32_e32 v2, v2, v57
	v_fma_f32 v61, v41, s0, -v61
	ds_write2_b32 v39, v5, v1 offset0:40 offset1:50
	v_sub_f32_e32 v1, v25, v66
	v_sub_f32_e32 v5, v79, v60
	v_fmac_f32_e32 v70, 0x3f4f1bbd, v77
	v_add_f32_e32 v77, v2, v58
	v_add_f32_e32 v2, v44, v57
	ds_write2_b32 v39, v1, v5 offset0:60 offset1:70
	v_sub_f32_e32 v1, v18, v61
	v_sub_f32_e32 v3, v23, v3
	v_fma_f32 v85, -0.5, v2, v73
	ds_write2_b32 v39, v1, v3 offset0:80 offset1:90
	v_sub_f32_e32 v1, v68, v59
	v_mov_b32_e32 v86, v85
	v_add_f32_e32 v62, v79, v60
	v_sub_f32_e32 v79, v4, v33
	v_sub_f32_e32 v3, v50, v44
	v_sub_f32_e32 v4, v58, v57
	v_fmac_f32_e32 v86, 0xbf737871, v1
	v_add_f32_e32 v84, v3, v4
	v_fmac_f32_e32 v86, 0xbf167918, v79
	v_fmac_f32_e32 v86, 0x3e9e377a, v84
	v_add_f32_e32 v63, v18, v61
	v_add_f32_e32 v89, v77, v6
	;; [unrolled: 1-line block ×3, first 2 shown]
	ds_write2_b32 v39, v62, v63 offset0:20 offset1:30
	s_waitcnt lgkmcnt(0)
	s_barrier
	v_lshl_add_u32 v35, v20, 2, 0
	v_add_u32_e32 v5, 0x1600, v34
	v_add_u32_e32 v31, 0x2500, v34
	;; [unrolled: 1-line block ×5, first 2 shown]
	v_lshl_add_u32 v33, v19, 2, 0
	v_add_u32_e32 v29, 0x2000, v34
	ds_read_b32 v24, v15
	ds_read_b32 v18, v33
	;; [unrolled: 1-line block ×5, first 2 shown]
	ds_read_b32 v88, v34 offset:12160
	ds_read2st64_b32 v[2:3], v34 offset1:15
	ds_read2_b32 v[25:26], v5 offset0:32 offset1:192
	ds_read2_b32 v[59:60], v31 offset0:32 offset1:192
	ds_read2_b32 v[61:62], v28 offset0:32 offset1:192
	ds_read2_b32 v[63:64], v4 offset0:32 offset1:192
	ds_read2_b32 v[65:66], v32 offset0:32 offset1:192
	ds_read2_b32 v[67:68], v29 offset0:32 offset1:192
	s_waitcnt lgkmcnt(0)
	s_barrier
	ds_write2_b32 v27, v89, v90 offset1:10
	v_add_f32_e32 v89, v50, v58
	v_fmac_f32_e32 v73, -0.5, v89
	v_sub_f32_e32 v44, v44, v50
	v_sub_f32_e32 v50, v57, v58
	v_add_f32_e32 v44, v44, v50
	v_mov_b32_e32 v50, v73
	v_fmac_f32_e32 v50, 0x3f737871, v79
	v_fmac_f32_e32 v73, 0xbf737871, v79
	;; [unrolled: 1-line block ×6, first 2 shown]
	v_mul_f32_e32 v44, 0xbf737871, v80
	v_mul_f32_e32 v51, 0x3e9e377a, v51
	v_fmac_f32_e32 v85, 0x3f737871, v1
	v_fmac_f32_e32 v44, 0x3e9e377a, v82
	v_fma_f32 v51, v74, s4, -v51
	v_fmac_f32_e32 v85, 0x3f167918, v79
	v_mul_f32_e32 v1, 0x3f4f1bbd, v75
	v_add_f32_e32 v57, v50, v44
	v_add_f32_e32 v58, v73, v51
	v_fmac_f32_e32 v85, 0x3e9e377a, v84
	v_fma_f32 v1, v69, s5, -v1
	v_add_f32_e32 v0, v0, v52
	ds_write2_b32 v27, v57, v58 offset0:20 offset1:30
	v_sub_f32_e32 v6, v77, v6
	v_add_f32_e32 v57, v85, v1
	v_add_f32_e32 v0, v0, v55
	ds_write2_b32 v27, v57, v6 offset0:40 offset1:50
	v_sub_f32_e32 v6, v86, v70
	v_sub_f32_e32 v44, v50, v44
	v_add_f32_e32 v0, v0, v46
	v_add_f32_e32 v46, v43, v47
	ds_write2_b32 v27, v6, v44 offset0:60 offset1:70
	v_sub_f32_e32 v6, v73, v51
	v_sub_f32_e32 v1, v85, v1
	v_fma_f32 v46, -0.5, v46, v72
	ds_write2_b32 v27, v6, v1 offset0:80 offset1:90
	v_sub_f32_e32 v1, v45, v56
	v_sub_f32_e32 v6, v49, v54
	v_add_f32_e32 v45, v72, v42
	v_mov_b32_e32 v49, v46
	v_sub_f32_e32 v27, v42, v43
	v_sub_f32_e32 v44, v53, v47
	v_add_f32_e32 v45, v45, v43
	v_fmac_f32_e32 v49, 0xbf737871, v1
	v_add_f32_e32 v27, v27, v44
	v_mul_f32_e32 v44, 0xbf167918, v71
	v_add_f32_e32 v45, v45, v47
	v_fmac_f32_e32 v49, 0xbf167918, v6
	v_fmac_f32_e32 v44, 0x3f4f1bbd, v78
	v_add_f32_e32 v45, v45, v53
	v_fmac_f32_e32 v49, 0x3e9e377a, v27
	v_add_f32_e32 v50, v45, v0
	v_add_f32_e32 v51, v49, v44
	ds_write2_b32 v39, v50, v51 offset1:10
	v_add_f32_e32 v50, v42, v53
	v_fmac_f32_e32 v72, -0.5, v50
	v_sub_f32_e32 v42, v43, v42
	v_sub_f32_e32 v43, v47, v53
	v_add_f32_e32 v42, v42, v43
	v_mov_b32_e32 v43, v72
	v_fmac_f32_e32 v43, 0x3f737871, v6
	v_fmac_f32_e32 v72, 0xbf737871, v6
	;; [unrolled: 1-line block ×6, first 2 shown]
	v_mul_f32_e32 v1, 0x3f4f1bbd, v76
	v_fmac_f32_e32 v43, 0x3e9e377a, v42
	v_fmac_f32_e32 v72, 0x3e9e377a, v42
	v_mul_f32_e32 v42, 0xbf737871, v81
	v_mul_f32_e32 v41, 0x3e9e377a, v41
	v_fmac_f32_e32 v46, 0x3e9e377a, v27
	v_fma_f32 v1, v48, s5, -v1
	v_fmac_f32_e32 v42, 0x3e9e377a, v83
	v_fma_f32 v40, v40, s4, -v41
	v_sub_f32_e32 v0, v45, v0
	v_add_f32_e32 v6, v46, v1
	v_add_f32_e32 v41, v43, v42
	;; [unrolled: 1-line block ×3, first 2 shown]
	ds_write2_b32 v39, v6, v0 offset0:40 offset1:50
	v_sub_f32_e32 v0, v49, v44
	v_sub_f32_e32 v6, v43, v42
	s_movk_i32 s0, 0x64
	ds_write2_b32 v39, v41, v47 offset0:20 offset1:30
	v_sub_f32_e32 v27, v72, v40
	v_sub_f32_e32 v1, v46, v1
	ds_write2_b32 v39, v0, v6 offset0:60 offset1:70
	ds_write2_b32 v39, v27, v1 offset0:80 offset1:90
	v_add_u32_e32 v0, 0xffffff9c, v8
	v_cmp_gt_u32_e64 s[0:1], s0, v8
	v_cndmask_b32_e64 v81, v0, v8, s[0:1]
	v_mul_i32_i24_e32 v0, 3, v81
	v_mov_b32_e32 v1, 0
	v_lshlrev_b64 v[39:40], 3, v[0:1]
	v_lshrrev_b16_e32 v0, 2, v13
	v_mov_b32_e32 v6, s9
	v_add_co_u32_e64 v69, s[0:1], s8, v39
	v_mul_u32_u24_e32 v0, 0x147b, v0
	v_addc_co_u32_e64 v70, s[0:1], v6, v40, s[0:1]
	v_lshrrev_b32_e32 v0, 17, v0
	s_waitcnt lgkmcnt(0)
	s_barrier
	global_load_dwordx4 v[39:42], v[69:70], off offset:720
	v_mul_lo_u16_e32 v27, 0x64, v0
	v_sub_u16_e32 v82, v13, v27
	v_mul_u32_u24_e32 v27, 3, v82
	v_lshrrev_b16_e32 v47, 2, v19
	v_lshlrev_b32_e32 v27, 3, v27
	v_mul_u32_u24_e32 v47, 0x147b, v47
	global_load_dwordx4 v[43:46], v27, s[8:9] offset:720
	v_lshrrev_b32_e32 v83, 17, v47
	v_mul_lo_u16_e32 v47, 0x64, v83
	v_sub_u16_e32 v84, v19, v47
	v_mul_u32_u24_e32 v47, 3, v84
	v_lshlrev_b32_e32 v85, 3, v47
	global_load_dwordx4 v[47:50], v85, s[8:9] offset:720
	v_lshrrev_b16_e32 v51, 2, v12
	v_mul_u32_u24_e32 v51, 0x147b, v51
	v_lshrrev_b32_e32 v86, 17, v51
	v_mul_lo_u16_e32 v51, 0x64, v86
	v_sub_u16_e32 v89, v12, v51
	v_mul_u32_u24_e32 v51, 3, v89
	v_lshlrev_b32_e32 v90, 3, v51
	global_load_dwordx4 v[51:54], v90, s[8:9] offset:720
	v_lshrrev_b16_e32 v55, 2, v16
	v_mul_u32_u24_e32 v55, 0x147b, v55
	v_lshrrev_b32_e32 v91, 17, v55
	v_mul_lo_u16_e32 v55, 0x64, v91
	v_sub_u16_e32 v92, v16, v55
	v_mul_u32_u24_e32 v55, 3, v92
	v_lshlrev_b32_e32 v93, 3, v55
	global_load_dwordx4 v[55:58], v93, s[8:9] offset:720
	global_load_dwordx2 v[71:72], v[69:70], off offset:736
	global_load_dwordx2 v[73:74], v93, s[8:9] offset:736
	global_load_dwordx2 v[75:76], v90, s[8:9] offset:736
	;; [unrolled: 1-line block ×4, first 2 shown]
	ds_read_b32 v27, v35
	ds_read2_b32 v[69:70], v5 offset0:32 offset1:192
	ds_read_b32 v85, v33
	ds_read_b32 v90, v15
	;; [unrolled: 1-line block ×3, first 2 shown]
	s_movk_i32 s0, 0x63
	v_cmp_lt_u32_e64 s[0:1], s0, v8
	v_mul_u32_u24_e32 v0, 0x640, v0
	s_movk_i32 s4, 0x2000
	s_waitcnt vmcnt(9) lgkmcnt(4)
	v_mul_f32_e32 v94, v27, v40
	v_fma_f32 v94, v87, v39, -v94
	v_mul_f32_e32 v87, v87, v40
	v_fmac_f32_e32 v87, v27, v39
	s_waitcnt lgkmcnt(3)
	v_mul_f32_e32 v27, v70, v42
	v_fma_f32 v95, v26, v41, -v27
	v_mul_f32_e32 v96, v26, v42
	ds_read2_b32 v[26:27], v29 offset0:32 offset1:192
	s_waitcnt vmcnt(8)
	v_mul_f32_e32 v39, v69, v44
	v_fmac_f32_e32 v96, v70, v41
	v_fma_f32 v70, v25, v43, -v39
	ds_read2_b32 v[39:40], v4 offset0:32 offset1:192
	v_mul_f32_e32 v44, v25, v44
	s_waitcnt lgkmcnt(1)
	v_mul_f32_e32 v25, v27, v46
	v_fmac_f32_e32 v44, v69, v43
	v_fma_f32 v43, v68, v45, -v25
	v_mul_f32_e32 v46, v68, v46
	s_waitcnt vmcnt(7)
	v_mul_f32_e32 v25, v26, v50
	v_fmac_f32_e32 v46, v27, v45
	v_fma_f32 v45, v67, v49, -v25
	v_mul_f32_e32 v50, v67, v50
	s_waitcnt lgkmcnt(0)
	v_mul_f32_e32 v25, v40, v48
	v_fmac_f32_e32 v50, v26, v49
	v_fma_f32 v49, v64, v47, -v25
	ds_read2_b32 v[25:26], v28 offset0:32 offset1:192
	v_mul_f32_e32 v48, v64, v48
	s_waitcnt vmcnt(6)
	v_mul_f32_e32 v27, v39, v52
	v_fmac_f32_e32 v48, v40, v47
	v_fma_f32 v47, v63, v51, -v27
	v_mul_f32_e32 v52, v63, v52
	s_waitcnt lgkmcnt(0)
	v_mul_f32_e32 v27, v26, v54
	v_mul_f32_e32 v54, v62, v54
	v_fmac_f32_e32 v52, v39, v51
	v_fma_f32 v51, v62, v53, -v27
	v_fmac_f32_e32 v54, v26, v53
	ds_read2st64_b32 v[26:27], v34 offset1:15
	s_waitcnt vmcnt(5)
	v_mul_f32_e32 v39, v25, v58
	v_fma_f32 v53, v61, v57, -v39
	ds_read2_b32 v[39:40], v31 offset0:32 offset1:192
	v_mul_f32_e32 v69, v61, v58
	ds_read2_b32 v[41:42], v32 offset0:32 offset1:192
	ds_read_b32 v58, v34 offset:12160
	v_fmac_f32_e32 v69, v25, v57
	s_waitcnt lgkmcnt(3)
	v_mul_f32_e32 v25, v27, v56
	v_fma_f32 v25, v3, v55, -v25
	v_mul_f32_e32 v3, v3, v56
	v_fmac_f32_e32 v3, v27, v55
	s_waitcnt vmcnt(4) lgkmcnt(2)
	v_mul_f32_e32 v27, v39, v72
	v_mul_f32_e32 v55, v59, v72
	v_fma_f32 v27, v59, v71, -v27
	v_fmac_f32_e32 v55, v39, v71
	s_waitcnt vmcnt(3)
	v_mul_f32_e32 v39, v40, v74
	v_mul_f32_e32 v56, v60, v74
	s_waitcnt vmcnt(2)
	v_mul_f32_e32 v57, v65, v76
	s_waitcnt vmcnt(1)
	;; [unrolled: 2-line block ×3, first 2 shown]
	v_mul_f32_e32 v61, v88, v80
	v_mov_b32_e32 v62, 0x640
	v_fma_f32 v39, v60, v73, -v39
	v_fmac_f32_e32 v56, v40, v73
	s_waitcnt lgkmcnt(1)
	v_mul_f32_e32 v40, v41, v76
	v_fmac_f32_e32 v57, v41, v75
	v_mul_f32_e32 v41, v42, v78
	v_fmac_f32_e32 v59, v42, v77
	ds_read_b32 v42, v9
	s_waitcnt lgkmcnt(1)
	v_mul_f32_e32 v60, v58, v80
	v_fmac_f32_e32 v61, v58, v79
	v_sub_f32_e32 v58, v2, v95
	v_cndmask_b32_e64 v62, 0, v62, s[0:1]
	v_lshlrev_b32_e32 v63, 2, v81
	v_sub_f32_e32 v27, v94, v27
	v_fma_f32 v2, v2, 2.0, -v58
	v_add3_u32 v71, 0, v62, v63
	v_sub_f32_e32 v55, v87, v55
	v_fma_f32 v62, v94, 2.0, -v27
	v_sub_f32_e32 v62, v2, v62
	v_sub_f32_e32 v63, v58, v55
	v_fma_f32 v2, v2, 2.0, -v62
	v_fma_f32 v58, v58, 2.0, -v63
	s_waitcnt lgkmcnt(0)
	s_barrier
	ds_write2_b32 v71, v2, v58 offset1:100
	v_mul_u32_u24_e32 v2, 0x640, v91
	v_lshlrev_b32_e32 v58, 2, v92
	v_add3_u32 v73, 0, v2, v58
	v_sub_f32_e32 v2, v24, v53
	v_sub_f32_e32 v39, v25, v39
	v_fma_f32 v24, v24, 2.0, -v2
	v_sub_f32_e32 v53, v3, v56
	v_fma_f32 v25, v25, 2.0, -v39
	v_sub_f32_e32 v25, v24, v25
	v_sub_f32_e32 v56, v2, v53
	v_add_u32_e32 v72, 0x200, v71
	v_fma_f32 v24, v24, 2.0, -v25
	v_fma_f32 v2, v2, 2.0, -v56
	ds_write2_b32 v72, v62, v63 offset0:72 offset1:172
	ds_write2_b32 v73, v24, v2 offset1:100
	v_add_u32_e32 v24, 0x200, v73
	v_fma_f32 v40, v65, v75, -v40
	ds_write2_b32 v24, v25, v56 offset0:72 offset1:172
	v_mul_u32_u24_e32 v2, 0x640, v86
	v_lshlrev_b32_e32 v25, 2, v89
	v_add3_u32 v25, 0, v2, v25
	v_sub_f32_e32 v2, v23, v51
	v_sub_f32_e32 v40, v47, v40
	v_fma_f32 v23, v23, 2.0, -v2
	v_sub_f32_e32 v51, v52, v57
	v_fma_f32 v47, v47, 2.0, -v40
	v_sub_f32_e32 v47, v23, v47
	v_sub_f32_e32 v56, v2, v51
	v_fma_f32 v23, v23, 2.0, -v47
	v_fma_f32 v2, v2, 2.0, -v56
	ds_write2_b32 v25, v23, v2 offset1:100
	v_add_u32_e32 v23, 0x200, v25
	v_fma_f32 v41, v66, v77, -v41
	ds_write2_b32 v23, v47, v56 offset0:72 offset1:172
	v_mul_u32_u24_e32 v2, 0x640, v83
	v_lshlrev_b32_e32 v47, 2, v84
	v_add3_u32 v47, 0, v2, v47
	v_sub_f32_e32 v2, v18, v45
	v_sub_f32_e32 v41, v49, v41
	v_fma_f32 v18, v18, 2.0, -v2
	v_sub_f32_e32 v45, v48, v59
	v_fma_f32 v49, v49, 2.0, -v41
	v_sub_f32_e32 v49, v18, v49
	v_sub_f32_e32 v56, v2, v45
	v_fma_f32 v18, v18, 2.0, -v49
	v_fma_f32 v2, v2, 2.0, -v56
	v_fma_f32 v60, v88, v79, -v60
	ds_write2_b32 v47, v18, v2 offset1:100
	v_lshlrev_b32_e32 v2, 2, v82
	v_add_u32_e32 v18, 0x200, v47
	v_add3_u32 v0, 0, v0, v2
	v_sub_f32_e32 v2, v7, v43
	v_sub_f32_e32 v43, v70, v60
	ds_write2_b32 v18, v49, v56 offset0:72 offset1:172
	v_fma_f32 v7, v7, 2.0, -v2
	v_sub_f32_e32 v49, v44, v61
	v_fma_f32 v56, v70, 2.0, -v43
	v_sub_f32_e32 v56, v7, v56
	v_sub_f32_e32 v57, v2, v49
	v_fma_f32 v7, v7, 2.0, -v56
	v_fma_f32 v2, v2, 2.0, -v57
	ds_write2_b32 v0, v7, v2 offset1:100
	v_sub_f32_e32 v2, v26, v96
	v_fma_f32 v26, v26, 2.0, -v2
	v_fma_f32 v55, v87, 2.0, -v55
	v_sub_f32_e32 v70, v26, v55
	v_add_f32_e32 v27, v2, v27
	v_add_u32_e32 v7, 0x200, v0
	v_fma_f32 v26, v26, 2.0, -v70
	v_fma_f32 v74, v2, 2.0, -v27
	ds_write2_b32 v7, v56, v57 offset0:72 offset1:172
	s_waitcnt lgkmcnt(0)
	s_barrier
	ds_read_b32 v79, v15
	ds_read_b32 v80, v33
	;; [unrolled: 1-line block ×5, first 2 shown]
	ds_read_b32 v83, v34 offset:12160
	ds_read2st64_b32 v[55:56], v34 offset1:15
	ds_read2_b32 v[57:58], v5 offset0:32 offset1:192
	ds_read2_b32 v[59:60], v31 offset0:32 offset1:192
	;; [unrolled: 1-line block ×6, first 2 shown]
	s_waitcnt lgkmcnt(0)
	s_barrier
	ds_write2_b32 v71, v26, v74 offset1:100
	ds_write2_b32 v72, v70, v27 offset0:72 offset1:172
	v_sub_f32_e32 v26, v90, v69
	v_fma_f32 v3, v3, 2.0, -v53
	v_fma_f32 v27, v90, 2.0, -v26
	v_sub_f32_e32 v3, v27, v3
	v_add_f32_e32 v39, v26, v39
	v_fma_f32 v27, v27, 2.0, -v3
	v_fma_f32 v26, v26, 2.0, -v39
	ds_write2_b32 v73, v27, v26 offset1:100
	ds_write2_b32 v24, v3, v39 offset0:72 offset1:172
	v_sub_f32_e32 v24, v42, v54
	v_fma_f32 v3, v52, 2.0, -v51
	v_fma_f32 v26, v42, 2.0, -v24
	v_sub_f32_e32 v3, v26, v3
	v_add_f32_e32 v27, v24, v40
	v_fma_f32 v26, v26, 2.0, -v3
	v_fma_f32 v24, v24, 2.0, -v27
	;; [unrolled: 9-line block ×4, first 2 shown]
	ds_write2_b32 v0, v23, v18 offset1:100
	ds_write2_b32 v7, v3, v24 offset0:72 offset1:172
	v_mul_u32_u24_e32 v0, 3, v8
	v_lshlrev_b32_e32 v3, 3, v0
	s_waitcnt lgkmcnt(0)
	s_barrier
	global_load_dwordx4 v[23:26], v3, s[8:9] offset:3120
	v_add_co_u32_e64 v18, s[0:1], s8, v3
	v_addc_co_u32_e64 v27, s[0:1], 0, v6, s[0:1]
	v_add_co_u32_e64 v39, s[0:1], s4, v18
	v_addc_co_u32_e64 v40, s[0:1], 0, v27, s[0:1]
	global_load_dwordx4 v[39:42], v[39:40], off offset:688
	s_movk_i32 s0, 0x1000
	v_add_co_u32_e64 v43, s[0:1], s0, v18
	v_addc_co_u32_e64 v44, s[0:1], 0, v27, s[0:1]
	s_movk_i32 s0, 0x50
	v_add_u32_e32 v7, 0xffffffb0, v8
	v_cmp_gt_u32_e64 s[0:1], s0, v8
	global_load_dwordx4 v[43:46], v[43:44], off offset:944
	v_mul_i32_i24_e32 v0, 3, v16
	v_cndmask_b32_e64 v84, v7, v12, s[0:1]
	v_lshlrev_b64 v[51:52], 3, v[0:1]
	v_mul_i32_i24_e32 v0, 3, v84
	v_lshlrev_b64 v[47:48], 3, v[0:1]
	v_add_co_u32_e64 v69, s[0:1], s8, v47
	v_addc_co_u32_e64 v70, s[0:1], v6, v48, s[0:1]
	global_load_dwordx4 v[47:50], v[69:70], off offset:3120
	v_add_co_u32_e64 v71, s[0:1], s8, v51
	v_addc_co_u32_e64 v72, s[0:1], v6, v52, s[0:1]
	global_load_dwordx4 v[51:54], v[71:72], off offset:3120
	global_load_dwordx2 v[6:7], v3, s[8:9] offset:3136
	global_load_dwordx2 v[73:74], v[71:72], off offset:3136
	global_load_dwordx2 v[75:76], v[69:70], off offset:3136
	s_movk_i32 s0, 0x13b0
	v_add_co_u32_e64 v69, s[0:1], s0, v18
	v_addc_co_u32_e64 v70, s[0:1], 0, v27, s[0:1]
	s_movk_i32 s0, 0x22b0
	v_add_co_u32_e64 v71, s[0:1], s0, v18
	v_addc_co_u32_e64 v72, s[0:1], 0, v27, s[0:1]
	global_load_dwordx2 v[69:70], v[69:70], off offset:16
	s_movk_i32 s0, 0x4f
	global_load_dwordx2 v[71:72], v[71:72], off offset:16
	ds_read_b32 v0, v35
	ds_read2_b32 v[77:78], v5 offset0:32 offset1:192
	ds_read_b32 v85, v33
	ds_read_b32 v86, v15
	;; [unrolled: 1-line block ×3, first 2 shown]
	v_cmp_lt_u32_e64 s[0:1], s0, v8
	s_waitcnt vmcnt(9) lgkmcnt(4)
	v_mul_f32_e32 v3, v0, v24
	v_mul_f32_e32 v27, v81, v24
	v_fma_f32 v18, v81, v23, -v3
	v_fmac_f32_e32 v27, v0, v23
	ds_read2_b32 v[23:24], v29 offset0:32 offset1:192
	s_waitcnt lgkmcnt(4)
	v_mul_f32_e32 v0, v78, v26
	v_mul_f32_e32 v26, v58, v26
	v_fma_f32 v0, v58, v25, -v0
	v_fmac_f32_e32 v26, v78, v25
	s_waitcnt vmcnt(8)
	v_mul_f32_e32 v3, v77, v40
	v_fma_f32 v25, v57, v39, -v3
	v_mul_f32_e32 v57, v57, v40
	s_waitcnt lgkmcnt(0)
	v_mul_f32_e32 v3, v24, v42
	v_fmac_f32_e32 v57, v77, v39
	v_fma_f32 v39, v68, v41, -v3
	ds_read2_b32 v[3:4], v4 offset0:32 offset1:192
	v_mul_f32_e32 v58, v68, v42
	v_fmac_f32_e32 v58, v24, v41
	s_waitcnt vmcnt(7)
	v_mul_f32_e32 v5, v23, v46
	v_fma_f32 v40, v67, v45, -v5
	s_waitcnt lgkmcnt(0)
	v_mul_f32_e32 v5, v4, v44
	v_fma_f32 v41, v64, v43, -v5
	v_mul_f32_e32 v64, v64, v44
	v_fmac_f32_e32 v64, v4, v43
	ds_read2_b32 v[4:5], v28 offset0:32 offset1:192
	v_mul_f32_e32 v67, v67, v46
	v_fmac_f32_e32 v67, v23, v45
	v_sub_f32_e32 v0, v55, v0
	s_waitcnt vmcnt(6)
	v_mul_f32_e32 v23, v3, v48
	v_fma_f32 v42, v63, v47, -v23
	v_mul_f32_e32 v63, v63, v48
	v_fmac_f32_e32 v63, v3, v47
	s_waitcnt lgkmcnt(0)
	v_mul_f32_e32 v3, v5, v50
	v_mul_f32_e32 v50, v62, v50
	v_fma_f32 v43, v62, v49, -v3
	v_fmac_f32_e32 v50, v5, v49
	s_waitcnt vmcnt(5)
	v_mul_f32_e32 v3, v4, v54
	ds_read2st64_b32 v[23:24], v34 offset1:15
	v_mul_f32_e32 v49, v61, v54
	v_fma_f32 v44, v61, v53, -v3
	v_fmac_f32_e32 v49, v4, v53
	ds_read2_b32 v[3:4], v31 offset0:32 offset1:192
	s_waitcnt lgkmcnt(1)
	v_mul_f32_e32 v5, v24, v52
	v_fma_f32 v45, v56, v51, -v5
	v_mul_f32_e32 v46, v56, v52
	v_fmac_f32_e32 v46, v24, v51
	s_waitcnt vmcnt(4) lgkmcnt(0)
	v_mul_f32_e32 v5, v3, v7
	v_mul_f32_e32 v7, v59, v7
	v_fma_f32 v24, v59, v6, -v5
	v_fmac_f32_e32 v7, v3, v6
	ds_read2_b32 v[5:6], v32 offset0:32 offset1:192
	ds_read_b32 v51, v34 offset:12160
	ds_read_b32 v53, v9
	s_waitcnt vmcnt(3)
	v_mul_f32_e32 v47, v60, v74
	s_waitcnt vmcnt(2)
	v_mul_f32_e32 v48, v65, v76
	;; [unrolled: 2-line block ×4, first 2 shown]
	v_mul_f32_e32 v3, v4, v74
	v_fmac_f32_e32 v47, v4, v73
	s_waitcnt lgkmcnt(2)
	v_mul_f32_e32 v4, v5, v76
	v_fmac_f32_e32 v48, v5, v75
	v_mul_f32_e32 v5, v6, v70
	v_fmac_f32_e32 v52, v6, v69
	s_waitcnt lgkmcnt(1)
	v_mul_f32_e32 v6, v51, v72
	v_fmac_f32_e32 v54, v51, v71
	v_fma_f32 v51, v55, 2.0, -v0
	v_sub_f32_e32 v55, v18, v24
	v_fma_f32 v18, v18, 2.0, -v55
	v_sub_f32_e32 v18, v51, v18
	;; [unrolled: 2-line block ×3, first 2 shown]
	s_waitcnt lgkmcnt(0)
	s_barrier
	ds_write_b32 v34, v24
	v_sub_f32_e32 v24, v0, v7
	v_fma_f32 v3, v60, v73, -v3
	v_fma_f32 v0, v0, 2.0, -v24
	ds_write_b32 v34, v0 offset:1600
	ds_write_b32 v34, v18 offset:3200
	ds_write_b32 v34, v24 offset:4800
	v_sub_f32_e32 v0, v79, v44
	v_sub_f32_e32 v51, v45, v3
	v_fma_f32 v18, v79, 2.0, -v0
	v_fma_f32 v3, v45, 2.0, -v51
	v_sub_f32_e32 v3, v18, v3
	v_fma_f32 v18, v18, 2.0, -v3
	ds_write_b32 v15, v18
	v_sub_f32_e32 v18, v46, v47
	v_sub_f32_e32 v24, v0, v18
	v_fma_f32 v0, v0, 2.0, -v24
	ds_write_b32 v15, v0 offset:1600
	ds_write_b32 v15, v3 offset:3200
	;; [unrolled: 1-line block ×3, first 2 shown]
	v_mov_b32_e32 v0, 0x1900
	v_fma_f32 v4, v65, v75, -v4
	v_cndmask_b32_e64 v0, 0, v0, s[0:1]
	v_lshlrev_b32_e32 v3, 2, v84
	v_add3_u32 v56, 0, v0, v3
	v_sub_f32_e32 v0, v82, v43
	v_sub_f32_e32 v59, v42, v4
	v_fma_f32 v3, v82, 2.0, -v0
	v_fma_f32 v4, v42, 2.0, -v59
	v_sub_f32_e32 v4, v3, v4
	v_fma_f32 v3, v3, 2.0, -v4
	v_sub_f32_e32 v60, v63, v48
	ds_write_b32 v56, v3
	v_sub_f32_e32 v3, v0, v60
	v_fma_f32 v5, v66, v69, -v5
	v_fma_f32 v6, v83, v71, -v6
	v_fma_f32 v0, v0, 2.0, -v3
	ds_write_b32 v56, v0 offset:1600
	ds_write_b32 v56, v4 offset:3200
	;; [unrolled: 1-line block ×3, first 2 shown]
	v_sub_f32_e32 v0, v80, v40
	v_sub_f32_e32 v61, v41, v5
	;; [unrolled: 1-line block ×4, first 2 shown]
	v_fma_f32 v3, v80, 2.0, -v0
	v_fma_f32 v4, v41, 2.0, -v61
	;; [unrolled: 1-line block ×4, first 2 shown]
	v_sub_f32_e32 v4, v3, v4
	v_sub_f32_e32 v6, v2, v6
	v_lshl_add_u32 v24, v8, 2, 0
	v_fma_f32 v3, v3, 2.0, -v4
	v_fma_f32 v2, v2, 2.0, -v6
	v_add_u32_e32 v65, 0x1a00, v24
	v_sub_f32_e32 v52, v64, v52
	v_sub_f32_e32 v54, v57, v54
	ds_write2_b32 v65, v3, v2 offset0:16 offset1:176
	v_sub_f32_e32 v2, v0, v52
	v_sub_f32_e32 v3, v5, v54
	v_fma_f32 v0, v0, 2.0, -v2
	v_fma_f32 v5, v5, 2.0, -v3
	v_add_u32_e32 v66, 0x2000, v24
	v_add_u32_e32 v69, 0x2c00, v24
	v_sub_f32_e32 v70, v23, v26
	ds_write2_b32 v66, v0, v5 offset0:32 offset1:192
	ds_write2_b32 v69, v2, v3 offset0:64 offset1:224
	v_fma_f32 v0, v23, 2.0, -v70
	v_fma_f32 v2, v27, 2.0, -v7
	v_sub_f32_e32 v71, v0, v2
	v_add_f32_e32 v55, v70, v55
	v_add_u32_e32 v68, 0x2600, v24
	v_fma_f32 v72, v0, 2.0, -v71
	v_lshl_add_u32 v48, v21, 2, 0
	v_fma_f32 v70, v70, 2.0, -v55
	v_sub_f32_e32 v49, v86, v49
	ds_write2_b32 v68, v4, v6 offset0:48 offset1:208
	v_fma_f32 v23, v46, 2.0, -v18
	s_waitcnt lgkmcnt(0)
	s_barrier
	ds_read_b32 v43, v37
	ds_read_b32 v44, v48
	;; [unrolled: 1-line block ×5, first 2 shown]
	v_lshl_add_u32 v18, v22, 2, 0
	ds_read_b32 v0, v15
	ds_read_b32 v46, v18
	;; [unrolled: 1-line block ×4, first 2 shown]
	ds_read_b32 v47, v34 offset:12160
	ds_read2st64_b32 v[2:3], v34 offset1:25
	ds_read2_b32 v[4:5], v28 offset0:32 offset1:192
	ds_read2_b32 v[6:7], v29 offset0:32 offset1:192
	;; [unrolled: 1-line block ×4, first 2 shown]
	s_waitcnt lgkmcnt(0)
	s_barrier
	ds_write_b32 v34, v72
	ds_write_b32 v34, v70 offset:1600
	ds_write_b32 v34, v71 offset:3200
	ds_write_b32 v34, v55 offset:4800
	v_fma_f32 v55, v86, 2.0, -v49
	v_sub_f32_e32 v23, v55, v23
	v_add_f32_e32 v51, v49, v51
	v_fma_f32 v55, v55, 2.0, -v23
	v_fma_f32 v49, v49, 2.0, -v51
	ds_write_b32 v15, v55
	ds_write_b32 v15, v49 offset:1600
	ds_write_b32 v15, v23 offset:3200
	;; [unrolled: 1-line block ×3, first 2 shown]
	v_sub_f32_e32 v23, v53, v50
	v_fma_f32 v15, v63, 2.0, -v60
	v_fma_f32 v49, v53, 2.0, -v23
	v_sub_f32_e32 v15, v49, v15
	v_fma_f32 v49, v49, 2.0, -v15
	ds_write_b32 v56, v49
	v_add_f32_e32 v49, v23, v59
	v_fma_f32 v23, v23, 2.0, -v49
	ds_write_b32 v56, v23 offset:1600
	ds_write_b32 v56, v15 offset:3200
	;; [unrolled: 1-line block ×3, first 2 shown]
	v_sub_f32_e32 v49, v85, v67
	v_sub_f32_e32 v51, v87, v58
	v_fma_f32 v15, v64, 2.0, -v52
	v_fma_f32 v23, v57, 2.0, -v54
	v_fma_f32 v50, v85, 2.0, -v49
	v_fma_f32 v52, v87, 2.0, -v51
	v_sub_f32_e32 v15, v50, v15
	v_sub_f32_e32 v23, v52, v23
	v_fma_f32 v50, v50, 2.0, -v15
	v_fma_f32 v52, v52, 2.0, -v23
	ds_write2_b32 v65, v50, v52 offset0:16 offset1:176
	v_add_f32_e32 v50, v49, v61
	v_add_f32_e32 v52, v51, v62
	v_fma_f32 v49, v49, 2.0, -v50
	v_fma_f32 v51, v51, 2.0, -v52
	s_movk_i32 s0, 0x640
	ds_write2_b32 v66, v49, v51 offset0:32 offset1:192
	ds_write2_b32 v68, v15, v23 offset0:48 offset1:208
	;; [unrolled: 1-line block ×3, first 2 shown]
	s_waitcnt lgkmcnt(0)
	s_barrier
	s_and_saveexec_b64 s[4:5], vcc
	s_cbranch_execz .LBB0_15
; %bb.14:
	v_mov_b32_e32 v23, v1
	v_lshlrev_b64 v[22:23], 3, v[22:23]
	v_mov_b32_e32 v61, s9
	v_add_co_u32_e32 v15, vcc, s8, v22
	ds_read_b32 v60, v18
	v_addc_co_u32_e32 v18, vcc, v61, v23, vcc
	v_add_co_u32_e32 v22, vcc, 0x3000, v15
	v_addc_co_u32_e32 v23, vcc, 0, v18, vcc
	v_mov_b32_e32 v18, v1
	v_lshlrev_b64 v[17:18], 3, v[17:18]
	s_movk_i32 s1, 0x3000
	v_add_co_u32_e32 v15, vcc, s8, v17
	global_load_dwordx2 v[49:50], v[22:23], off offset:432
	v_addc_co_u32_e32 v18, vcc, v61, v18, vcc
	v_mov_b32_e32 v22, v1
	v_add_co_u32_e32 v17, vcc, s1, v15
	v_lshlrev_b64 v[21:22], 3, v[21:22]
	v_addc_co_u32_e32 v18, vcc, 0, v18, vcc
	v_add_co_u32_e32 v15, vcc, s8, v21
	v_addc_co_u32_e32 v22, vcc, v61, v22, vcc
	v_add_co_u32_e32 v21, vcc, s1, v15
	v_mov_b32_e32 v15, v1
	v_lshlrev_b64 v[14:15], 3, v[14:15]
	v_addc_co_u32_e32 v22, vcc, 0, v22, vcc
	v_add_co_u32_e32 v14, vcc, s8, v14
	v_addc_co_u32_e32 v15, vcc, v61, v15, vcc
	v_add_co_u32_e32 v14, vcc, s1, v14
	ds_read_b32 v23, v34 offset:12160
	v_addc_co_u32_e32 v15, vcc, 0, v15, vcc
	global_load_dwordx2 v[51:52], v[17:18], off offset:432
	global_load_dwordx2 v[53:54], v[21:22], off offset:432
	;; [unrolled: 1-line block ×3, first 2 shown]
	v_mov_b32_e32 v21, v1
	v_lshlrev_b64 v[14:15], 3, v[20:21]
	v_mov_b32_e32 v20, v1
	v_add_co_u32_e32 v14, vcc, s8, v14
	v_addc_co_u32_e32 v15, vcc, v61, v15, vcc
	v_add_co_u32_e32 v14, vcc, s1, v14
	v_addc_co_u32_e32 v15, vcc, 0, v15, vcc
	global_load_dwordx2 v[21:22], v[14:15], off offset:432
	v_mov_b32_e32 v14, v1
	v_lshlrev_b64 v[13:14], 3, v[13:14]
	v_lshlrev_b64 v[17:18], 3, v[19:20]
	v_add_co_u32_e32 v13, vcc, s8, v13
	v_addc_co_u32_e32 v14, vcc, v61, v14, vcc
	v_add_co_u32_e32 v13, vcc, s1, v13
	v_addc_co_u32_e32 v14, vcc, 0, v14, vcc
	;; [unrolled: 2-line block ×3, first 2 shown]
	v_add_co_u32_e32 v17, vcc, s1, v15
	ds_read_b32 v62, v35
	ds_read_b32 v63, v48
	;; [unrolled: 1-line block ×3, first 2 shown]
	v_addc_co_u32_e32 v18, vcc, 0, v18, vcc
	global_load_dwordx2 v[19:20], v[13:14], off offset:432
	global_load_dwordx2 v[57:58], v[17:18], off offset:432
	v_mov_b32_e32 v13, v1
	v_lshlrev_b64 v[12:13], 3, v[12:13]
	ds_read_b32 v18, v38
	ds_read_b32 v65, v37
	;; [unrolled: 1-line block ×4, first 2 shown]
	v_add_co_u32_e32 v9, vcc, s8, v12
	v_addc_co_u32_e32 v13, vcc, v61, v13, vcc
	v_add_co_u32_e32 v12, vcc, s1, v9
	v_addc_co_u32_e32 v13, vcc, 0, v13, vcc
	global_load_dwordx2 v[12:13], v[12:13], off offset:432
	v_mov_b32_e32 v17, v1
	v_lshlrev_b64 v[14:15], 3, v[16:17]
	v_mul_i32_i24_e32 v59, 0xffffffdc, v16
	v_add_co_u32_e32 v9, vcc, s8, v14
	v_addc_co_u32_e32 v15, vcc, v61, v15, vcc
	v_add_co_u32_e32 v14, vcc, s1, v9
	v_addc_co_u32_e32 v15, vcc, 0, v15, vcc
	global_load_dwordx2 v[14:15], v[14:15], off offset:432
	v_mov_b32_e32 v9, v1
	v_lshlrev_b64 v[16:17], 3, v[8:9]
	ds_read2_b32 v[37:38], v32 offset0:32 offset1:192
	v_add_co_u32_e32 v1, vcc, s8, v16
	v_addc_co_u32_e32 v9, vcc, v61, v17, vcc
	v_add_co_u32_e32 v16, vcc, s1, v1
	v_addc_co_u32_e32 v17, vcc, 0, v9, vcc
	global_load_dwordx2 v[16:17], v[16:17], off offset:432
	s_waitcnt vmcnt(9) lgkmcnt(8)
	v_mul_f32_e32 v1, v49, v23
	v_fmac_f32_e32 v1, v47, v50
	v_sub_f32_e32 v33, v60, v1
	v_mul_f32_e32 v1, v50, v23
	v_fma_f32 v1, v47, v49, -v1
	v_sub_f32_e32 v32, v46, v1
	v_fma_f32 v35, v46, 2.0, -v32
	s_waitcnt vmcnt(8) lgkmcnt(0)
	v_mul_f32_e32 v1, v51, v38
	v_fmac_f32_e32 v1, v27, v52
	v_sub_f32_e32 v47, v18, v1
	v_mul_f32_e32 v1, v52, v38
	v_fma_f32 v1, v27, v51, -v1
	ds_read2_b32 v[50:51], v31 offset0:32 offset1:192
	v_sub_f32_e32 v46, v45, v1
	s_waitcnt vmcnt(7)
	v_mul_f32_e32 v1, v53, v37
	v_fmac_f32_e32 v1, v26, v54
	v_sub_f32_e32 v27, v63, v1
	v_mul_f32_e32 v1, v54, v37
	v_fma_f32 v1, v26, v53, -v1
	v_sub_f32_e32 v26, v44, v1
	s_waitcnt vmcnt(6) lgkmcnt(0)
	v_mul_f32_e32 v1, v55, v51
	v_fmac_f32_e32 v1, v25, v56
	v_fma_f32 v48, v45, 2.0, -v46
	v_sub_f32_e32 v45, v65, v1
	v_mul_f32_e32 v1, v56, v51
	v_fma_f32 v1, v25, v55, -v1
	ds_read2_b32 v[53:54], v29 offset0:32 offset1:192
	v_fma_f32 v37, v44, 2.0, -v26
	v_sub_f32_e32 v44, v43, v1
	s_waitcnt vmcnt(5)
	v_mul_f32_e32 v1, v21, v50
	v_fmac_f32_e32 v1, v24, v22
	v_sub_f32_e32 v23, v62, v1
	v_mul_f32_e32 v1, v22, v50
	v_fma_f32 v1, v24, v21, -v1
	v_sub_f32_e32 v22, v42, v1
	ds_read2_b32 v[28:29], v28 offset0:32 offset1:192
	v_fma_f32 v49, v18, 2.0, -v47
	s_mov_b32 s1, 0x51eb851f
	v_fma_f32 v24, v42, 2.0, -v22
	v_fma_f32 v25, v62, 2.0, -v23
	;; [unrolled: 1-line block ×4, first 2 shown]
	s_waitcnt vmcnt(4) lgkmcnt(1)
	v_mul_f32_e32 v1, v19, v54
	v_fmac_f32_e32 v1, v7, v20
	v_sub_f32_e32 v21, v66, v1
	v_mul_f32_e32 v1, v20, v54
	v_fma_f32 v1, v7, v19, -v1
	v_sub_f32_e32 v20, v41, v1
	s_waitcnt vmcnt(3)
	v_mul_f32_e32 v1, v57, v53
	v_fmac_f32_e32 v1, v6, v58
	v_sub_f32_e32 v7, v64, v1
	v_mul_f32_e32 v1, v58, v53
	v_fma_f32 v1, v6, v57, -v1
	v_sub_f32_e32 v6, v40, v1
	v_fma_f32 v18, v40, 2.0, -v6
	s_waitcnt vmcnt(2) lgkmcnt(0)
	v_mul_f32_e32 v1, v12, v29
	v_fmac_f32_e32 v1, v5, v13
	v_sub_f32_e32 v31, v67, v1
	v_mul_f32_e32 v1, v13, v29
	v_fma_f32 v1, v5, v12, -v1
	v_add_u32_e32 v5, v30, v59
	ds_read_b32 v9, v5
	v_sub_f32_e32 v30, v39, v1
	ds_read2st64_b32 v[12:13], v34 offset1:25
	v_fma_f32 v40, v67, 2.0, -v31
	v_fma_f32 v39, v39, 2.0, -v30
	;; [unrolled: 1-line block ×3, first 2 shown]
	s_waitcnt vmcnt(1)
	v_mul_f32_e32 v1, v14, v28
	v_fmac_f32_e32 v1, v4, v15
	s_waitcnt lgkmcnt(1)
	v_sub_f32_e32 v5, v9, v1
	v_fma_f32 v1, v9, 2.0, -v5
	v_mul_f32_e32 v9, v15, v28
	v_fma_f32 v4, v4, v14, -v9
	v_mad_u64_u32 v[14:15], s[4:5], s2, v8, 0
	v_sub_f32_e32 v4, v0, v4
	v_fma_f32 v0, v0, 2.0, -v4
	v_fma_f32 v42, v66, 2.0, -v21
	v_fma_f32 v41, v41, 2.0, -v20
	s_waitcnt vmcnt(0) lgkmcnt(0)
	v_mul_f32_e32 v9, v16, v13
	v_fmac_f32_e32 v9, v3, v17
	v_mul_f32_e32 v17, v17, v13
	v_sub_f32_e32 v29, v12, v9
	v_mov_b32_e32 v9, v15
	v_fma_f32 v3, v3, v16, -v17
	v_fma_f32 v54, v12, 2.0, -v29
	v_mad_u64_u32 v[12:13], s[4:5], s3, v8, v[9:10]
	v_sub_f32_e32 v28, v2, v3
	v_fma_f32 v53, v2, 2.0, -v28
	v_mov_b32_e32 v2, s13
	v_add_co_u32_e32 v13, vcc, s12, v10
	v_addc_co_u32_e32 v16, vcc, v2, v11, vcc
	v_add_u32_e32 v11, 0x640, v8
	v_mad_u64_u32 v[9:10], s[4:5], s2, v11, 0
	v_mov_b32_e32 v15, v12
	v_lshlrev_b64 v[2:3], 3, v[14:15]
	v_mad_u64_u32 v[10:11], s[4:5], s3, v11, v[10:11]
	v_add_u32_e32 v14, 0xa0, v8
	v_mad_u64_u32 v[11:12], s[4:5], s2, v14, 0
	v_add_co_u32_e32 v2, vcc, v13, v2
	v_addc_co_u32_e32 v3, vcc, v16, v3, vcc
	global_store_dwordx2 v[2:3], v[53:54], off
	v_lshlrev_b64 v[2:3], 3, v[9:10]
	v_mov_b32_e32 v9, v12
	v_mad_u64_u32 v[9:10], s[4:5], s3, v14, v[9:10]
	v_add_co_u32_e32 v2, vcc, v13, v2
	v_addc_co_u32_e32 v3, vcc, v16, v3, vcc
	v_mov_b32_e32 v12, v9
	global_store_dwordx2 v[2:3], v[28:29], off
	v_lshlrev_b64 v[2:3], 3, v[11:12]
	v_add_u32_e32 v11, 0x6e0, v8
	v_mad_u64_u32 v[9:10], s[4:5], s2, v11, 0
	v_add_u32_e32 v14, 0x140, v8
	v_add_co_u32_e32 v2, vcc, v13, v2
	v_mad_u64_u32 v[10:11], s[4:5], s3, v11, v[10:11]
	v_mad_u64_u32 v[11:12], s[4:5], s2, v14, 0
	v_addc_co_u32_e32 v3, vcc, v16, v3, vcc
	global_store_dwordx2 v[2:3], v[0:1], off
	v_lshlrev_b64 v[0:1], 3, v[9:10]
	v_mov_b32_e32 v2, v12
	v_mad_u64_u32 v[2:3], s[4:5], s3, v14, v[2:3]
	v_add_co_u32_e32 v0, vcc, v13, v0
	v_addc_co_u32_e32 v1, vcc, v16, v1, vcc
	global_store_dwordx2 v[0:1], v[4:5], off
	v_add_u32_e32 v4, 0x780, v8
	v_mov_b32_e32 v12, v2
	v_mad_u64_u32 v[2:3], s[4:5], s2, v4, 0
	v_add_u32_e32 v9, 0x1e0, v8
	v_lshlrev_b64 v[0:1], 3, v[11:12]
	v_mad_u64_u32 v[3:4], s[4:5], s3, v4, v[3:4]
	v_mad_u64_u32 v[4:5], s[4:5], s2, v9, 0
	v_add_co_u32_e32 v0, vcc, v13, v0
	v_addc_co_u32_e32 v1, vcc, v16, v1, vcc
	global_store_dwordx2 v[0:1], v[39:40], off
	v_lshlrev_b64 v[0:1], 3, v[2:3]
	v_mov_b32_e32 v2, v5
	v_mad_u64_u32 v[2:3], s[4:5], s3, v9, v[2:3]
	v_add_co_u32_e32 v0, vcc, v13, v0
	v_addc_co_u32_e32 v1, vcc, v16, v1, vcc
	v_mov_b32_e32 v5, v2
	global_store_dwordx2 v[0:1], v[30:31], off
	v_lshlrev_b64 v[0:1], 3, v[4:5]
	v_add_u32_e32 v4, 0x820, v8
	v_mad_u64_u32 v[2:3], s[4:5], s2, v4, 0
	v_add_u32_e32 v9, 0x280, v8
	v_add_co_u32_e32 v0, vcc, v13, v0
	v_mad_u64_u32 v[3:4], s[4:5], s3, v4, v[3:4]
	v_mad_u64_u32 v[4:5], s[4:5], s2, v9, 0
	v_addc_co_u32_e32 v1, vcc, v16, v1, vcc
	global_store_dwordx2 v[0:1], v[18:19], off
	v_lshlrev_b64 v[0:1], 3, v[2:3]
	v_mov_b32_e32 v2, v5
	v_mad_u64_u32 v[2:3], s[4:5], s3, v9, v[2:3]
	v_add_co_u32_e32 v0, vcc, v13, v0
	v_addc_co_u32_e32 v1, vcc, v16, v1, vcc
	v_mov_b32_e32 v5, v2
	global_store_dwordx2 v[0:1], v[6:7], off
	v_lshlrev_b64 v[0:1], 3, v[4:5]
	v_add_u32_e32 v4, 0x8c0, v8
	v_mad_u64_u32 v[2:3], s[4:5], s2, v4, 0
	v_add_u32_e32 v5, 0x320, v8
	v_mul_hi_u32 v6, v5, s1
	v_mad_u64_u32 v[3:4], s[4:5], s3, v4, v[3:4]
	v_add_co_u32_e32 v0, vcc, v13, v0
	v_lshrrev_b32_e32 v4, 9, v6
	v_mad_u32_u24 v6, v4, s0, v5
	v_mad_u64_u32 v[4:5], s[4:5], s2, v6, 0
	v_addc_co_u32_e32 v1, vcc, v16, v1, vcc
	global_store_dwordx2 v[0:1], v[41:42], off
	v_lshlrev_b64 v[0:1], 3, v[2:3]
	v_mov_b32_e32 v2, v5
	v_mad_u64_u32 v[2:3], s[4:5], s3, v6, v[2:3]
	v_add_co_u32_e32 v0, vcc, v13, v0
	v_addc_co_u32_e32 v1, vcc, v16, v1, vcc
	v_mov_b32_e32 v5, v2
	global_store_dwordx2 v[0:1], v[20:21], off
	v_lshlrev_b64 v[0:1], 3, v[4:5]
	v_add_u32_e32 v4, 0x640, v6
	v_mad_u64_u32 v[2:3], s[4:5], s2, v4, 0
	v_add_u32_e32 v5, 0x3c0, v8
	v_mul_hi_u32 v6, v5, s1
	v_mad_u64_u32 v[3:4], s[4:5], s3, v4, v[3:4]
	v_add_co_u32_e32 v0, vcc, v13, v0
	v_lshrrev_b32_e32 v4, 9, v6
	v_mad_u32_u24 v6, v4, s0, v5
	v_mad_u64_u32 v[4:5], s[4:5], s2, v6, 0
	v_addc_co_u32_e32 v1, vcc, v16, v1, vcc
	global_store_dwordx2 v[0:1], v[24:25], off
	v_lshlrev_b64 v[0:1], 3, v[2:3]
	v_mov_b32_e32 v2, v5
	v_mad_u64_u32 v[2:3], s[4:5], s3, v6, v[2:3]
	v_add_co_u32_e32 v0, vcc, v13, v0
	v_addc_co_u32_e32 v1, vcc, v16, v1, vcc
	v_mov_b32_e32 v5, v2
	global_store_dwordx2 v[0:1], v[22:23], off
	v_lshlrev_b64 v[0:1], 3, v[4:5]
	v_add_u32_e32 v4, 0x640, v6
	v_mad_u64_u32 v[2:3], s[4:5], s2, v4, 0
	v_add_u32_e32 v6, 0x460, v8
	v_add_co_u32_e32 v0, vcc, v13, v0
	v_mad_u64_u32 v[3:4], s[4:5], s3, v4, v[3:4]
	v_mad_u64_u32 v[4:5], s[4:5], s2, v6, 0
	v_addc_co_u32_e32 v1, vcc, v16, v1, vcc
	global_store_dwordx2 v[0:1], v[51:52], off
	v_lshlrev_b64 v[0:1], 3, v[2:3]
	v_mov_b32_e32 v2, v5
	v_mad_u64_u32 v[2:3], s[4:5], s3, v6, v[2:3]
	v_add_co_u32_e32 v0, vcc, v13, v0
	v_addc_co_u32_e32 v1, vcc, v16, v1, vcc
	v_mov_b32_e32 v5, v2
	global_store_dwordx2 v[0:1], v[44:45], off
	v_lshlrev_b64 v[0:1], 3, v[4:5]
	v_add_u32_e32 v4, 0xaa0, v8
	v_mad_u64_u32 v[2:3], s[4:5], s2, v4, 0
	v_or_b32_e32 v6, 0x500, v8
	v_add_co_u32_e32 v0, vcc, v13, v0
	v_mad_u64_u32 v[3:4], s[4:5], s3, v4, v[3:4]
	v_mad_u64_u32 v[4:5], s[4:5], s2, v6, 0
	v_fma_f32 v38, v63, 2.0, -v27
	v_addc_co_u32_e32 v1, vcc, v16, v1, vcc
	global_store_dwordx2 v[0:1], v[37:38], off
	v_lshlrev_b64 v[0:1], 3, v[2:3]
	v_mov_b32_e32 v2, v5
	v_mad_u64_u32 v[2:3], s[4:5], s3, v6, v[2:3]
	v_add_co_u32_e32 v0, vcc, v13, v0
	v_addc_co_u32_e32 v1, vcc, v16, v1, vcc
	v_mov_b32_e32 v5, v2
	global_store_dwordx2 v[0:1], v[26:27], off
	v_lshlrev_b64 v[0:1], 3, v[4:5]
	v_add_u32_e32 v4, 0xb40, v8
	v_mad_u64_u32 v[2:3], s[4:5], s2, v4, 0
	v_add_co_u32_e32 v0, vcc, v13, v0
	v_mad_u64_u32 v[3:4], s[4:5], s3, v4, v[3:4]
	v_add_u32_e32 v4, 0x5a0, v8
	v_mul_hi_u32 v5, v4, s1
	v_addc_co_u32_e32 v1, vcc, v16, v1, vcc
	global_store_dwordx2 v[0:1], v[48:49], off
	v_lshlrev_b64 v[0:1], 3, v[2:3]
	v_lshrrev_b32_e32 v2, 9, v5
	v_mad_u32_u24 v5, v2, s0, v4
	v_mad_u64_u32 v[2:3], s[0:1], s2, v5, 0
	v_add_u32_e32 v6, 0x640, v5
	v_add_co_u32_e32 v0, vcc, v13, v0
	v_mad_u64_u32 v[3:4], s[0:1], s3, v5, v[3:4]
	v_mad_u64_u32 v[4:5], s[0:1], s2, v6, 0
	v_addc_co_u32_e32 v1, vcc, v16, v1, vcc
	global_store_dwordx2 v[0:1], v[46:47], off
	v_lshlrev_b64 v[0:1], 3, v[2:3]
	v_mov_b32_e32 v2, v5
	v_mad_u64_u32 v[2:3], s[0:1], s3, v6, v[2:3]
	v_add_co_u32_e32 v0, vcc, v13, v0
	v_fma_f32 v36, v60, 2.0, -v33
	v_addc_co_u32_e32 v1, vcc, v16, v1, vcc
	v_mov_b32_e32 v5, v2
	global_store_dwordx2 v[0:1], v[35:36], off
	v_lshlrev_b64 v[0:1], 3, v[4:5]
	v_add_co_u32_e32 v0, vcc, v13, v0
	v_addc_co_u32_e32 v1, vcc, v16, v1, vcc
	global_store_dwordx2 v[0:1], v[32:33], off
.LBB0_15:
	s_endpgm
	.section	.rodata,"a",@progbits
	.p2align	6, 0x0
	.amdhsa_kernel fft_rtc_fwd_len3200_factors_10_10_4_4_2_wgs_160_tpt_160_halfLds_sp_ip_CI_sbrr_dirReg
		.amdhsa_group_segment_fixed_size 0
		.amdhsa_private_segment_fixed_size 0
		.amdhsa_kernarg_size 88
		.amdhsa_user_sgpr_count 6
		.amdhsa_user_sgpr_private_segment_buffer 1
		.amdhsa_user_sgpr_dispatch_ptr 0
		.amdhsa_user_sgpr_queue_ptr 0
		.amdhsa_user_sgpr_kernarg_segment_ptr 1
		.amdhsa_user_sgpr_dispatch_id 0
		.amdhsa_user_sgpr_flat_scratch_init 0
		.amdhsa_user_sgpr_private_segment_size 0
		.amdhsa_uses_dynamic_stack 0
		.amdhsa_system_sgpr_private_segment_wavefront_offset 0
		.amdhsa_system_sgpr_workgroup_id_x 1
		.amdhsa_system_sgpr_workgroup_id_y 0
		.amdhsa_system_sgpr_workgroup_id_z 0
		.amdhsa_system_sgpr_workgroup_info 0
		.amdhsa_system_vgpr_workitem_id 0
		.amdhsa_next_free_vgpr 97
		.amdhsa_next_free_sgpr 24
		.amdhsa_reserve_vcc 1
		.amdhsa_reserve_flat_scratch 0
		.amdhsa_float_round_mode_32 0
		.amdhsa_float_round_mode_16_64 0
		.amdhsa_float_denorm_mode_32 3
		.amdhsa_float_denorm_mode_16_64 3
		.amdhsa_dx10_clamp 1
		.amdhsa_ieee_mode 1
		.amdhsa_fp16_overflow 0
		.amdhsa_exception_fp_ieee_invalid_op 0
		.amdhsa_exception_fp_denorm_src 0
		.amdhsa_exception_fp_ieee_div_zero 0
		.amdhsa_exception_fp_ieee_overflow 0
		.amdhsa_exception_fp_ieee_underflow 0
		.amdhsa_exception_fp_ieee_inexact 0
		.amdhsa_exception_int_div_zero 0
	.end_amdhsa_kernel
	.text
.Lfunc_end0:
	.size	fft_rtc_fwd_len3200_factors_10_10_4_4_2_wgs_160_tpt_160_halfLds_sp_ip_CI_sbrr_dirReg, .Lfunc_end0-fft_rtc_fwd_len3200_factors_10_10_4_4_2_wgs_160_tpt_160_halfLds_sp_ip_CI_sbrr_dirReg
                                        ; -- End function
	.section	.AMDGPU.csdata,"",@progbits
; Kernel info:
; codeLenInByte = 13072
; NumSgprs: 28
; NumVgprs: 97
; ScratchSize: 0
; MemoryBound: 0
; FloatMode: 240
; IeeeMode: 1
; LDSByteSize: 0 bytes/workgroup (compile time only)
; SGPRBlocks: 3
; VGPRBlocks: 24
; NumSGPRsForWavesPerEU: 28
; NumVGPRsForWavesPerEU: 97
; Occupancy: 2
; WaveLimiterHint : 1
; COMPUTE_PGM_RSRC2:SCRATCH_EN: 0
; COMPUTE_PGM_RSRC2:USER_SGPR: 6
; COMPUTE_PGM_RSRC2:TRAP_HANDLER: 0
; COMPUTE_PGM_RSRC2:TGID_X_EN: 1
; COMPUTE_PGM_RSRC2:TGID_Y_EN: 0
; COMPUTE_PGM_RSRC2:TGID_Z_EN: 0
; COMPUTE_PGM_RSRC2:TIDIG_COMP_CNT: 0
	.type	__hip_cuid_de899457c077c197,@object ; @__hip_cuid_de899457c077c197
	.section	.bss,"aw",@nobits
	.globl	__hip_cuid_de899457c077c197
__hip_cuid_de899457c077c197:
	.byte	0                               ; 0x0
	.size	__hip_cuid_de899457c077c197, 1

	.ident	"AMD clang version 19.0.0git (https://github.com/RadeonOpenCompute/llvm-project roc-6.4.0 25133 c7fe45cf4b819c5991fe208aaa96edf142730f1d)"
	.section	".note.GNU-stack","",@progbits
	.addrsig
	.addrsig_sym __hip_cuid_de899457c077c197
	.amdgpu_metadata
---
amdhsa.kernels:
  - .args:
      - .actual_access:  read_only
        .address_space:  global
        .offset:         0
        .size:           8
        .value_kind:     global_buffer
      - .offset:         8
        .size:           8
        .value_kind:     by_value
      - .actual_access:  read_only
        .address_space:  global
        .offset:         16
        .size:           8
        .value_kind:     global_buffer
      - .actual_access:  read_only
        .address_space:  global
        .offset:         24
        .size:           8
        .value_kind:     global_buffer
      - .offset:         32
        .size:           8
        .value_kind:     by_value
      - .actual_access:  read_only
        .address_space:  global
        .offset:         40
        .size:           8
        .value_kind:     global_buffer
      - .actual_access:  read_only
        .address_space:  global
        .offset:         48
        .size:           8
        .value_kind:     global_buffer
      - .offset:         56
        .size:           4
        .value_kind:     by_value
      - .actual_access:  read_only
        .address_space:  global
        .offset:         64
        .size:           8
        .value_kind:     global_buffer
      - .actual_access:  read_only
        .address_space:  global
        .offset:         72
        .size:           8
        .value_kind:     global_buffer
      - .address_space:  global
        .offset:         80
        .size:           8
        .value_kind:     global_buffer
    .group_segment_fixed_size: 0
    .kernarg_segment_align: 8
    .kernarg_segment_size: 88
    .language:       OpenCL C
    .language_version:
      - 2
      - 0
    .max_flat_workgroup_size: 160
    .name:           fft_rtc_fwd_len3200_factors_10_10_4_4_2_wgs_160_tpt_160_halfLds_sp_ip_CI_sbrr_dirReg
    .private_segment_fixed_size: 0
    .sgpr_count:     28
    .sgpr_spill_count: 0
    .symbol:         fft_rtc_fwd_len3200_factors_10_10_4_4_2_wgs_160_tpt_160_halfLds_sp_ip_CI_sbrr_dirReg.kd
    .uniform_work_group_size: 1
    .uses_dynamic_stack: false
    .vgpr_count:     97
    .vgpr_spill_count: 0
    .wavefront_size: 64
amdhsa.target:   amdgcn-amd-amdhsa--gfx906
amdhsa.version:
  - 1
  - 2
...

	.end_amdgpu_metadata
